;; amdgpu-corpus repo=ROCm/vllm kind=compiled arch=gfx1250 opt=O3
	.amdgcn_target "amdgcn-amd-amdhsa--gfx1250"
	.amdhsa_code_object_version 6
	.section	.text._Z14LLGemm1_kernelIN3c104HalfELi2EEvPKT_S4_PS2_i,"axG",@progbits,_Z14LLGemm1_kernelIN3c104HalfELi2EEvPKT_S4_PS2_i,comdat
	.protected	_Z14LLGemm1_kernelIN3c104HalfELi2EEvPKT_S4_PS2_i ; -- Begin function _Z14LLGemm1_kernelIN3c104HalfELi2EEvPKT_S4_PS2_i
	.globl	_Z14LLGemm1_kernelIN3c104HalfELi2EEvPKT_S4_PS2_i
	.p2align	8
	.type	_Z14LLGemm1_kernelIN3c104HalfELi2EEvPKT_S4_PS2_i,@function
_Z14LLGemm1_kernelIN3c104HalfELi2EEvPKT_S4_PS2_i: ; @_Z14LLGemm1_kernelIN3c104HalfELi2EEvPKT_S4_PS2_i
; %bb.0:
	s_clause 0x1
	s_load_b96 s[8:10], s[0:1], 0x10
	s_load_b128 s[4:7], s[0:1], 0x0
	s_bfe_u32 s2, ttmp6, 0x4000c
	v_lshlrev_b32_e32 v1, 3, v0
	s_add_co_i32 s2, s2, 1
	s_and_b32 s3, ttmp6, 15
	s_mul_i32 s2, ttmp9, s2
                                        ; implicit-def: $vgpr5
                                        ; implicit-def: $vgpr9
                                        ; implicit-def: $vgpr13
	s_delay_alu instid0(SALU_CYCLE_1) | instskip(SKIP_1) | instid1(SALU_CYCLE_1)
	s_add_co_i32 s2, s3, s2
	s_getreg_b32 s3, hwreg(HW_REG_IB_STS2, 6, 4)
	s_cmp_eq_u32 s3, 0
	s_mov_b32 s3, 0
	s_cselect_b32 s11, ttmp9, s2
	s_wait_kmcnt 0x0
	v_cmp_gt_i32_e32 vcc_lo, s10, v1
	s_and_saveexec_b32 s12, vcc_lo
	s_cbranch_execz .LBB0_2
; %bb.1:
	s_mul_i32 s2, s11, s10
	s_delay_alu instid0(SALU_CYCLE_1) | instskip(NEXT) | instid1(SALU_CYCLE_1)
	s_bfe_u32 s2, s2, 0x1d0002
	v_dual_mov_b32 v15, 0 :: v_dual_add_nc_u32 v14, s2, v0
	s_lshr_b32 s2, s10, 3
	s_delay_alu instid0(VALU_DEP_1) | instskip(NEXT) | instid1(VALU_DEP_1)
	v_lshl_add_u64 v[2:3], v[14:15], 4, s[4:5]
	v_lshl_add_u64 v[16:17], s[2:3], 4, v[2:3]
	s_clause 0x1
	global_load_b128 v[6:9], v14, s[4:5] scale_offset th:TH_LOAD_NT
	global_load_b128 v[2:5], v[16:17], off th:TH_LOAD_NT
	global_load_b128 v[10:13], v0, s[6:7] scale_offset
.LBB0_2:
	s_wait_xcnt 0x0
	s_or_b32 exec_lo, exec_lo, s12
	s_wait_loadcnt 0x0
	v_pk_mul_f16 v2, v10, v2
	v_pk_mul_f16 v6, v10, v6
	s_delay_alu instid0(VALU_DEP_2) | instskip(NEXT) | instid1(VALU_DEP_2)
	v_pk_fma_f16 v2, v3, v11, v2
	v_pk_fma_f16 v3, v7, v11, v6
	s_delay_alu instid0(VALU_DEP_2) | instskip(NEXT) | instid1(VALU_DEP_2)
	v_pk_fma_f16 v2, v4, v12, v2
	v_pk_fma_f16 v3, v8, v12, v3
	v_mbcnt_lo_u32_b32 v12, -1, 0
	s_delay_alu instid0(VALU_DEP_3) | instskip(NEXT) | instid1(VALU_DEP_3)
	v_pk_fma_f16 v2, v5, v13, v2
	v_pk_fma_f16 v4, v9, v13, v3
	s_delay_alu instid0(VALU_DEP_2) | instskip(NEXT) | instid1(VALU_DEP_2)
	v_dual_lshrrev_b32 v5, 16, v2 :: v_dual_bitop2_b32 v7, 16, v12 bitop3:0x14
	v_lshrrev_b32_e32 v6, 16, v4
	v_cvt_f32_f16_e32 v3, v2
	v_cvt_f32_f16_e32 v2, v4
	s_delay_alu instid0(VALU_DEP_4) | instskip(SKIP_2) | instid1(VALU_DEP_1)
	v_cmp_gt_i32_e64 s2, 32, v7
	v_cvt_f32_f16_e32 v5, v5
	v_cvt_f32_f16_e32 v4, v6
	v_pk_add_f32 v[2:3], v[2:3], v[4:5]
	s_delay_alu instid0(VALU_DEP_4) | instskip(SKIP_1) | instid1(VALU_DEP_2)
	v_cndmask_b32_e64 v6, v12, v7, s2
	s_mov_b32 s2, exec_lo
	v_dual_cndmask_b32 v3, 0, v3, vcc_lo :: v_dual_bitop2_b32 v5, 8, v12 bitop3:0x14
	s_delay_alu instid0(VALU_DEP_3) | instskip(NEXT) | instid1(VALU_DEP_3)
	v_cndmask_b32_e32 v2, 0, v2, vcc_lo
	v_lshlrev_b32_e32 v4, 2, v6
	s_delay_alu instid0(VALU_DEP_3)
	v_cmp_gt_i32_e32 vcc_lo, 32, v5
	ds_bpermute_b32 v6, v4, v2
	ds_bpermute_b32 v7, v4, v3
	v_cndmask_b32_e32 v5, v12, v5, vcc_lo
	s_wait_dscnt 0x0
	v_pk_add_f32 v[2:3], v[2:3], v[6:7]
	v_xor_b32_e32 v6, 4, v12
	v_xor_b32_e32 v7, 2, v12
	s_delay_alu instid0(VALU_DEP_2)
	v_cmp_gt_i32_e32 vcc_lo, 32, v6
	v_dual_cndmask_b32 v6, v12, v6 :: v_dual_lshlrev_b32 v5, 2, v5
	ds_bpermute_b32 v8, v5, v2
	ds_bpermute_b32 v9, v5, v3
	v_cmp_gt_i32_e32 vcc_lo, 32, v7
	v_dual_cndmask_b32 v7, v12, v7 :: v_dual_lshlrev_b32 v6, 2, v6
	s_wait_dscnt 0x0
	v_pk_add_f32 v[2:3], v[2:3], v[8:9]
	ds_bpermute_b32 v8, v6, v2
	ds_bpermute_b32 v9, v6, v3
	s_wait_dscnt 0x0
	v_pk_add_f32 v[2:3], v[2:3], v[8:9]
	v_xor_b32_e32 v8, 1, v12
	v_and_b32_e32 v9, 31, v0
	s_delay_alu instid0(VALU_DEP_2)
	v_cmp_gt_i32_e32 vcc_lo, 32, v8
	v_dual_cndmask_b32 v8, v12, v8 :: v_dual_lshlrev_b32 v7, 2, v7
	ds_bpermute_b32 v10, v7, v2
	ds_bpermute_b32 v11, v7, v3
	v_lshlrev_b32_e32 v8, 2, v8
	s_wait_dscnt 0x0
	v_pk_add_f32 v[2:3], v[2:3], v[10:11]
	ds_bpermute_b32 v10, v8, v2
	ds_bpermute_b32 v11, v8, v3
	v_cmpx_gt_u32_e32 2, v9
	s_cbranch_execz .LBB0_4
; %bb.3:
	v_cmp_eq_u32_e32 vcc_lo, 1, v9
	s_wait_dscnt 0x0
	v_dual_lshrrev_b32 v12, 3, v0 :: v_dual_cndmask_b32 v10, v10, v11, vcc_lo
	s_delay_alu instid0(VALU_DEP_1) | instskip(SKIP_1) | instid1(VALU_DEP_2)
	v_and_b32_e32 v11, 0x7c, v12
	v_cndmask_b32_e32 v2, v2, v3, vcc_lo
	v_lshl_or_b32 v3, v9, 7, v11
	s_delay_alu instid0(VALU_DEP_2)
	v_add_f32_e32 v2, v2, v10
	ds_store_b32 v3, v2
.LBB0_4:
	s_or_b32 exec_lo, exec_lo, s2
	s_wait_dscnt 0x0
	s_barrier_signal -1
	s_barrier_wait -1
	s_mov_b32 s2, exec_lo
	v_cmpx_gt_u32_e32 32, v0
	s_cbranch_execz .LBB0_9
; %bb.5:
	s_load_b32 s0, s[0:1], 0x2c
	v_dual_mov_b32 v0, 0 :: v_dual_bitop2_b32 v2, 15, v0 bitop3:0x40
	s_wait_kmcnt 0x0
	s_and_b32 s0, 0xffff, s0
	s_delay_alu instid0(SALU_CYCLE_1)
	s_lshr_b32 s0, s0, 5
	s_delay_alu instid0(VALU_DEP_1) | instid1(SALU_CYCLE_1)
	v_cmp_gt_u32_e32 vcc_lo, s0, v2
	s_and_saveexec_b32 s0, vcc_lo
; %bb.6:
	v_lshlrev_b32_e32 v0, 2, v2
	s_delay_alu instid0(VALU_DEP_1)
	v_and_or_b32 v0, 0x1f80, v1, v0
	ds_load_b32 v0, v0
; %bb.7:
	s_or_b32 exec_lo, exec_lo, s0
	s_wait_dscnt 0x0
	ds_bpermute_b32 v1, v5, v0
	v_cmp_eq_u32_e32 vcc_lo, 0, v9
	s_wait_dscnt 0x0
	v_add_f32_e32 v0, v0, v1
	ds_bpermute_b32 v1, v6, v0
	s_wait_dscnt 0x0
	v_add_f32_e32 v0, v0, v1
	ds_bpermute_b32 v1, v7, v0
	;; [unrolled: 3-line block ×4, first 2 shown]
	s_and_b32 exec_lo, exec_lo, vcc_lo
	s_cbranch_execz .LBB0_9
; %bb.8:
	s_and_b32 s0, s11, 0x7fffffff
	s_wait_dscnt 0x0
	v_cvt_pk_f16_f32 v0, v0, v1
	v_mov_b32_e32 v1, s0
	global_store_b32 v1, v0, s[8:9] scale_offset
.LBB0_9:
	s_endpgm
	.section	.rodata,"a",@progbits
	.p2align	6, 0x0
	.amdhsa_kernel _Z14LLGemm1_kernelIN3c104HalfELi2EEvPKT_S4_PS2_i
		.amdhsa_group_segment_fixed_size 256
		.amdhsa_private_segment_fixed_size 0
		.amdhsa_kernarg_size 288
		.amdhsa_user_sgpr_count 2
		.amdhsa_user_sgpr_dispatch_ptr 0
		.amdhsa_user_sgpr_queue_ptr 0
		.amdhsa_user_sgpr_kernarg_segment_ptr 1
		.amdhsa_user_sgpr_dispatch_id 0
		.amdhsa_user_sgpr_kernarg_preload_length 0
		.amdhsa_user_sgpr_kernarg_preload_offset 0
		.amdhsa_user_sgpr_private_segment_size 0
		.amdhsa_wavefront_size32 1
		.amdhsa_uses_dynamic_stack 0
		.amdhsa_enable_private_segment 0
		.amdhsa_system_sgpr_workgroup_id_x 1
		.amdhsa_system_sgpr_workgroup_id_y 0
		.amdhsa_system_sgpr_workgroup_id_z 0
		.amdhsa_system_sgpr_workgroup_info 0
		.amdhsa_system_vgpr_workitem_id 0
		.amdhsa_next_free_vgpr 18
		.amdhsa_next_free_sgpr 13
		.amdhsa_named_barrier_count 0
		.amdhsa_reserve_vcc 1
		.amdhsa_float_round_mode_32 0
		.amdhsa_float_round_mode_16_64 0
		.amdhsa_float_denorm_mode_32 3
		.amdhsa_float_denorm_mode_16_64 3
		.amdhsa_fp16_overflow 0
		.amdhsa_memory_ordered 1
		.amdhsa_forward_progress 1
		.amdhsa_inst_pref_size 7
		.amdhsa_round_robin_scheduling 0
		.amdhsa_exception_fp_ieee_invalid_op 0
		.amdhsa_exception_fp_denorm_src 0
		.amdhsa_exception_fp_ieee_div_zero 0
		.amdhsa_exception_fp_ieee_overflow 0
		.amdhsa_exception_fp_ieee_underflow 0
		.amdhsa_exception_fp_ieee_inexact 0
		.amdhsa_exception_int_div_zero 0
	.end_amdhsa_kernel
	.section	.text._Z14LLGemm1_kernelIN3c104HalfELi2EEvPKT_S4_PS2_i,"axG",@progbits,_Z14LLGemm1_kernelIN3c104HalfELi2EEvPKT_S4_PS2_i,comdat
.Lfunc_end0:
	.size	_Z14LLGemm1_kernelIN3c104HalfELi2EEvPKT_S4_PS2_i, .Lfunc_end0-_Z14LLGemm1_kernelIN3c104HalfELi2EEvPKT_S4_PS2_i
                                        ; -- End function
	.set _Z14LLGemm1_kernelIN3c104HalfELi2EEvPKT_S4_PS2_i.num_vgpr, 18
	.set _Z14LLGemm1_kernelIN3c104HalfELi2EEvPKT_S4_PS2_i.num_agpr, 0
	.set _Z14LLGemm1_kernelIN3c104HalfELi2EEvPKT_S4_PS2_i.numbered_sgpr, 13
	.set _Z14LLGemm1_kernelIN3c104HalfELi2EEvPKT_S4_PS2_i.num_named_barrier, 0
	.set _Z14LLGemm1_kernelIN3c104HalfELi2EEvPKT_S4_PS2_i.private_seg_size, 0
	.set _Z14LLGemm1_kernelIN3c104HalfELi2EEvPKT_S4_PS2_i.uses_vcc, 1
	.set _Z14LLGemm1_kernelIN3c104HalfELi2EEvPKT_S4_PS2_i.uses_flat_scratch, 0
	.set _Z14LLGemm1_kernelIN3c104HalfELi2EEvPKT_S4_PS2_i.has_dyn_sized_stack, 0
	.set _Z14LLGemm1_kernelIN3c104HalfELi2EEvPKT_S4_PS2_i.has_recursion, 0
	.set _Z14LLGemm1_kernelIN3c104HalfELi2EEvPKT_S4_PS2_i.has_indirect_call, 0
	.section	.AMDGPU.csdata,"",@progbits
; Kernel info:
; codeLenInByte = 876
; TotalNumSgprs: 15
; NumVgprs: 18
; ScratchSize: 0
; MemoryBound: 0
; FloatMode: 240
; IeeeMode: 1
; LDSByteSize: 256 bytes/workgroup (compile time only)
; SGPRBlocks: 0
; VGPRBlocks: 1
; NumSGPRsForWavesPerEU: 15
; NumVGPRsForWavesPerEU: 18
; NamedBarCnt: 0
; Occupancy: 16
; WaveLimiterHint : 0
; COMPUTE_PGM_RSRC2:SCRATCH_EN: 0
; COMPUTE_PGM_RSRC2:USER_SGPR: 2
; COMPUTE_PGM_RSRC2:TRAP_HANDLER: 0
; COMPUTE_PGM_RSRC2:TGID_X_EN: 1
; COMPUTE_PGM_RSRC2:TGID_Y_EN: 0
; COMPUTE_PGM_RSRC2:TGID_Z_EN: 0
; COMPUTE_PGM_RSRC2:TIDIG_COMP_CNT: 0
	.section	.text._Z14LLGemm1_kernelIN3c104HalfELi4EEvPKT_S4_PS2_i,"axG",@progbits,_Z14LLGemm1_kernelIN3c104HalfELi4EEvPKT_S4_PS2_i,comdat
	.protected	_Z14LLGemm1_kernelIN3c104HalfELi4EEvPKT_S4_PS2_i ; -- Begin function _Z14LLGemm1_kernelIN3c104HalfELi4EEvPKT_S4_PS2_i
	.globl	_Z14LLGemm1_kernelIN3c104HalfELi4EEvPKT_S4_PS2_i
	.p2align	8
	.type	_Z14LLGemm1_kernelIN3c104HalfELi4EEvPKT_S4_PS2_i,@function
_Z14LLGemm1_kernelIN3c104HalfELi4EEvPKT_S4_PS2_i: ; @_Z14LLGemm1_kernelIN3c104HalfELi4EEvPKT_S4_PS2_i
; %bb.0:
	s_clause 0x1
	s_load_b96 s[8:10], s[0:1], 0x10
	s_load_b128 s[4:7], s[0:1], 0x0
	s_bfe_u32 s2, ttmp6, 0x4000c
	v_lshlrev_b32_e32 v1, 3, v0
	s_add_co_i32 s2, s2, 1
	s_and_b32 s3, ttmp6, 15
	s_mul_i32 s2, ttmp9, s2
                                        ; implicit-def: $vgpr5
                                        ; implicit-def: $vgpr9
                                        ; implicit-def: $vgpr13
                                        ; implicit-def: $vgpr17
                                        ; implicit-def: $vgpr21
	s_delay_alu instid0(SALU_CYCLE_1) | instskip(SKIP_1) | instid1(SALU_CYCLE_1)
	s_add_co_i32 s2, s3, s2
	s_getreg_b32 s3, hwreg(HW_REG_IB_STS2, 6, 4)
	s_cmp_eq_u32 s3, 0
	s_mov_b32 s3, 0
	s_cselect_b32 s11, ttmp9, s2
	s_wait_kmcnt 0x0
	v_cmp_gt_i32_e32 vcc_lo, s10, v1
	s_and_saveexec_b32 s12, vcc_lo
	s_cbranch_execz .LBB1_2
; %bb.1:
	s_mul_i32 s2, s11, s10
	s_delay_alu instid0(SALU_CYCLE_1) | instskip(NEXT) | instid1(SALU_CYCLE_1)
	s_bfe_u32 s2, s2, 0x1d0001
	v_dual_mov_b32 v23, 0 :: v_dual_add_nc_u32 v22, s2, v0
	s_lshr_b32 s2, s10, 3
	s_delay_alu instid0(VALU_DEP_1) | instskip(SKIP_1) | instid1(VALU_DEP_2)
	v_lshl_add_u64 v[2:3], v[22:23], 4, s[4:5]
	v_add3_u32 v23, s2, s2, v22
	v_lshl_add_u64 v[24:25], s[2:3], 4, v[2:3]
	s_delay_alu instid0(VALU_DEP_2)
	v_add_nc_u32_e32 v26, s2, v23
	s_clause 0x3
	global_load_b128 v[10:13], v[24:25], off th:TH_LOAD_NT
	global_load_b128 v[6:9], v23, s[4:5] scale_offset th:TH_LOAD_NT
	global_load_b128 v[14:17], v22, s[4:5] scale_offset th:TH_LOAD_NT
	;; [unrolled: 1-line block ×3, first 2 shown]
	global_load_b128 v[18:21], v0, s[6:7] scale_offset
.LBB1_2:
	s_wait_xcnt 0x0
	s_or_b32 exec_lo, exec_lo, s12
	s_wait_loadcnt 0x0
	v_pk_mul_f16 v10, v18, v10
	v_pk_mul_f16 v14, v18, v14
	;; [unrolled: 1-line block ×4, first 2 shown]
	v_mbcnt_lo_u32_b32 v18, -1, 0
	v_pk_fma_f16 v10, v11, v19, v10
	v_pk_fma_f16 v11, v15, v19, v14
	;; [unrolled: 1-line block ×4, first 2 shown]
	s_mov_b32 s3, exec_lo
	v_pk_fma_f16 v3, v12, v20, v10
	v_pk_fma_f16 v7, v16, v20, v11
	;; [unrolled: 1-line block ×4, first 2 shown]
	s_delay_alu instid0(VALU_DEP_4) | instskip(NEXT) | instid1(VALU_DEP_4)
	v_pk_fma_f16 v4, v13, v21, v3
	v_pk_fma_f16 v7, v17, v21, v7
	v_xor_b32_e32 v10, 16, v18
	v_pk_fma_f16 v6, v9, v21, v6
	v_pk_fma_f16 v8, v5, v21, v2
	v_cvt_f32_f16_e32 v3, v4
	v_dual_lshrrev_b32 v4, 16, v4 :: v_dual_lshrrev_b32 v9, 16, v7
	v_cvt_f32_f16_e32 v2, v7
	s_delay_alu instid0(VALU_DEP_4) | instskip(SKIP_1) | instid1(VALU_DEP_4)
	v_lshrrev_b32_e32 v11, 16, v8
	v_cvt_f32_f16_e32 v7, v8
	v_cvt_f32_f16_e32 v5, v4
	;; [unrolled: 1-line block ×3, first 2 shown]
	v_cmp_gt_i32_e64 s2, 32, v10
	v_cvt_f32_f16_e32 v9, v11
	s_delay_alu instid0(VALU_DEP_3) | instskip(SKIP_2) | instid1(VALU_DEP_3)
	v_pk_add_f32 v[2:3], v[2:3], v[4:5]
	v_lshrrev_b32_e32 v12, 16, v6
	v_cvt_f32_f16_e32 v6, v6
	v_cndmask_b32_e32 v3, 0, v3, vcc_lo
	s_delay_alu instid0(VALU_DEP_3) | instskip(NEXT) | instid1(VALU_DEP_1)
	v_cvt_f32_f16_e32 v8, v12
	v_pk_add_f32 v[4:5], v[6:7], v[8:9]
	v_cndmask_b32_e64 v10, v18, v10, s2
	v_xor_b32_e32 v7, 8, v18
	s_delay_alu instid0(VALU_DEP_3) | instskip(NEXT) | instid1(VALU_DEP_3)
	v_dual_cndmask_b32 v2, 0, v2, vcc_lo :: v_dual_cndmask_b32 v4, 0, v4, vcc_lo
	v_dual_cndmask_b32 v5, 0, v5 :: v_dual_lshlrev_b32 v6, 2, v10
	s_delay_alu instid0(VALU_DEP_3)
	v_cmp_gt_i32_e32 vcc_lo, 32, v7
	ds_bpermute_b32 v9, v6, v3
	ds_bpermute_b32 v10, v6, v4
	v_cndmask_b32_e32 v7, v18, v7, vcc_lo
	ds_bpermute_b32 v8, v6, v2
	ds_bpermute_b32 v11, v6, v5
	v_lshlrev_b32_e32 v7, 2, v7
	s_wait_dscnt 0x1
	v_pk_add_f32 v[2:3], v[2:3], v[8:9]
	s_wait_dscnt 0x0
	v_pk_add_f32 v[4:5], v[4:5], v[10:11]
	v_xor_b32_e32 v8, 4, v18
	v_xor_b32_e32 v9, 2, v18
	ds_bpermute_b32 v10, v7, v2
	ds_bpermute_b32 v11, v7, v3
	;; [unrolled: 1-line block ×4, first 2 shown]
	v_cmp_gt_i32_e32 vcc_lo, 32, v8
	v_cndmask_b32_e32 v8, v18, v8, vcc_lo
	v_cmp_gt_i32_e32 vcc_lo, 32, v9
	s_delay_alu instid0(VALU_DEP_2)
	v_dual_cndmask_b32 v9, v18, v9 :: v_dual_lshlrev_b32 v8, 2, v8
	s_wait_dscnt 0x2
	v_pk_add_f32 v[2:3], v[2:3], v[10:11]
	s_wait_dscnt 0x0
	v_pk_add_f32 v[4:5], v[4:5], v[12:13]
	ds_bpermute_b32 v10, v8, v2
	ds_bpermute_b32 v11, v8, v3
	;; [unrolled: 1-line block ×4, first 2 shown]
	s_wait_dscnt 0x2
	v_pk_add_f32 v[2:3], v[2:3], v[10:11]
	v_xor_b32_e32 v10, 1, v18
	s_wait_dscnt 0x0
	v_pk_add_f32 v[12:13], v[4:5], v[12:13]
	s_delay_alu instid0(VALU_DEP_2)
	v_cmp_gt_i32_e32 vcc_lo, 32, v10
	v_dual_cndmask_b32 v10, v18, v10 :: v_dual_lshlrev_b32 v9, 2, v9
	ds_bpermute_b32 v4, v9, v2
	ds_bpermute_b32 v5, v9, v3
	;; [unrolled: 1-line block ×4, first 2 shown]
	v_dual_lshlrev_b32 v11, 2, v10 :: v_dual_lshrrev_b32 v10, 5, v0
	s_wait_dscnt 0x2
	v_pk_add_f32 v[4:5], v[2:3], v[4:5]
	s_wait_dscnt 0x0
	v_pk_add_f32 v[2:3], v[12:13], v[14:15]
	v_and_b32_e32 v12, 31, v0
	ds_bpermute_b32 v15, v11, v4
	ds_bpermute_b32 v16, v11, v5
	;; [unrolled: 1-line block ×4, first 2 shown]
	v_cmpx_gt_u32_e32 4, v12
	s_cbranch_execz .LBB1_4
; %bb.3:
	v_cmp_eq_u32_e32 vcc_lo, 1, v12
	v_cmp_eq_u32_e64 s2, 3, v12
	s_wait_dscnt 0x2
	v_dual_cndmask_b32 v15, v15, v16 :: v_dual_cndmask_b32 v4, v4, v5
	v_cmp_eq_u32_e32 vcc_lo, 2, v12
	s_delay_alu instid0(VALU_DEP_2) | instskip(SKIP_1) | instid1(VALU_DEP_1)
	v_cndmask_b32_e32 v2, v4, v2, vcc_lo
	s_wait_dscnt 0x1
	v_dual_cndmask_b32 v5, v15, v14, vcc_lo :: v_dual_cndmask_b32 v2, v2, v3, s2
	s_wait_dscnt 0x0
	s_delay_alu instid0(VALU_DEP_1) | instskip(NEXT) | instid1(VALU_DEP_1)
	v_dual_cndmask_b32 v5, v5, v13, s2 :: v_dual_lshlrev_b32 v4, 2, v10
	v_add_f32_e32 v2, v2, v5
	s_delay_alu instid0(VALU_DEP_2)
	v_lshl_or_b32 v3, v12, 7, v4
	ds_store_b32 v3, v2
.LBB1_4:
	s_or_b32 exec_lo, exec_lo, s3
	s_wait_dscnt 0x0
	s_barrier_signal -1
	s_barrier_wait -1
	s_mov_b32 s2, exec_lo
	v_cmpx_gt_u32_e32 64, v0
	s_cbranch_execz .LBB1_9
; %bb.5:
	s_load_b32 s0, s[0:1], 0x2c
	v_dual_mov_b32 v0, 0 :: v_dual_bitop2_b32 v2, 15, v0 bitop3:0x40
	s_wait_kmcnt 0x0
	s_and_b32 s0, 0xffff, s0
	s_delay_alu instid0(SALU_CYCLE_1)
	s_lshr_b32 s0, s0, 5
	s_delay_alu instid0(VALU_DEP_1) | instid1(SALU_CYCLE_1)
	v_cmp_gt_u32_e32 vcc_lo, s0, v2
	s_and_saveexec_b32 s0, vcc_lo
; %bb.6:
	v_lshlrev_b32_e32 v0, 2, v2
	s_delay_alu instid0(VALU_DEP_1)
	v_and_or_b32 v0, 0x1f80, v1, v0
	ds_load_b32 v0, v0
; %bb.7:
	s_or_b32 exec_lo, exec_lo, s0
	s_wait_dscnt 0x0
	ds_bpermute_b32 v1, v7, v0
	v_cmp_eq_u32_e32 vcc_lo, 0, v12
	s_wait_dscnt 0x0
	v_add_f32_e32 v0, v0, v1
	ds_bpermute_b32 v1, v8, v0
	s_wait_dscnt 0x0
	v_add_f32_e32 v0, v0, v1
	ds_bpermute_b32 v1, v9, v0
	;; [unrolled: 3-line block ×4, first 2 shown]
	s_and_b32 exec_lo, exec_lo, vcc_lo
	s_cbranch_execz .LBB1_9
; %bb.8:
	s_lshl_b32 s0, s11, 1
	s_wait_dscnt 0x0
	v_cvt_pk_f16_f32 v0, v0, v1
	v_and_or_b32 v1, 0x7ffffffe, s0, v10
	global_store_b32 v1, v0, s[8:9] scale_offset
.LBB1_9:
	s_endpgm
	.section	.rodata,"a",@progbits
	.p2align	6, 0x0
	.amdhsa_kernel _Z14LLGemm1_kernelIN3c104HalfELi4EEvPKT_S4_PS2_i
		.amdhsa_group_segment_fixed_size 512
		.amdhsa_private_segment_fixed_size 0
		.amdhsa_kernarg_size 288
		.amdhsa_user_sgpr_count 2
		.amdhsa_user_sgpr_dispatch_ptr 0
		.amdhsa_user_sgpr_queue_ptr 0
		.amdhsa_user_sgpr_kernarg_segment_ptr 1
		.amdhsa_user_sgpr_dispatch_id 0
		.amdhsa_user_sgpr_kernarg_preload_length 0
		.amdhsa_user_sgpr_kernarg_preload_offset 0
		.amdhsa_user_sgpr_private_segment_size 0
		.amdhsa_wavefront_size32 1
		.amdhsa_uses_dynamic_stack 0
		.amdhsa_enable_private_segment 0
		.amdhsa_system_sgpr_workgroup_id_x 1
		.amdhsa_system_sgpr_workgroup_id_y 0
		.amdhsa_system_sgpr_workgroup_id_z 0
		.amdhsa_system_sgpr_workgroup_info 0
		.amdhsa_system_vgpr_workitem_id 0
		.amdhsa_next_free_vgpr 27
		.amdhsa_next_free_sgpr 13
		.amdhsa_named_barrier_count 0
		.amdhsa_reserve_vcc 1
		.amdhsa_float_round_mode_32 0
		.amdhsa_float_round_mode_16_64 0
		.amdhsa_float_denorm_mode_32 3
		.amdhsa_float_denorm_mode_16_64 3
		.amdhsa_fp16_overflow 0
		.amdhsa_memory_ordered 1
		.amdhsa_forward_progress 1
		.amdhsa_inst_pref_size 10
		.amdhsa_round_robin_scheduling 0
		.amdhsa_exception_fp_ieee_invalid_op 0
		.amdhsa_exception_fp_denorm_src 0
		.amdhsa_exception_fp_ieee_div_zero 0
		.amdhsa_exception_fp_ieee_overflow 0
		.amdhsa_exception_fp_ieee_underflow 0
		.amdhsa_exception_fp_ieee_inexact 0
		.amdhsa_exception_int_div_zero 0
	.end_amdhsa_kernel
	.section	.text._Z14LLGemm1_kernelIN3c104HalfELi4EEvPKT_S4_PS2_i,"axG",@progbits,_Z14LLGemm1_kernelIN3c104HalfELi4EEvPKT_S4_PS2_i,comdat
.Lfunc_end1:
	.size	_Z14LLGemm1_kernelIN3c104HalfELi4EEvPKT_S4_PS2_i, .Lfunc_end1-_Z14LLGemm1_kernelIN3c104HalfELi4EEvPKT_S4_PS2_i
                                        ; -- End function
	.set _Z14LLGemm1_kernelIN3c104HalfELi4EEvPKT_S4_PS2_i.num_vgpr, 27
	.set _Z14LLGemm1_kernelIN3c104HalfELi4EEvPKT_S4_PS2_i.num_agpr, 0
	.set _Z14LLGemm1_kernelIN3c104HalfELi4EEvPKT_S4_PS2_i.numbered_sgpr, 13
	.set _Z14LLGemm1_kernelIN3c104HalfELi4EEvPKT_S4_PS2_i.num_named_barrier, 0
	.set _Z14LLGemm1_kernelIN3c104HalfELi4EEvPKT_S4_PS2_i.private_seg_size, 0
	.set _Z14LLGemm1_kernelIN3c104HalfELi4EEvPKT_S4_PS2_i.uses_vcc, 1
	.set _Z14LLGemm1_kernelIN3c104HalfELi4EEvPKT_S4_PS2_i.uses_flat_scratch, 0
	.set _Z14LLGemm1_kernelIN3c104HalfELi4EEvPKT_S4_PS2_i.has_dyn_sized_stack, 0
	.set _Z14LLGemm1_kernelIN3c104HalfELi4EEvPKT_S4_PS2_i.has_recursion, 0
	.set _Z14LLGemm1_kernelIN3c104HalfELi4EEvPKT_S4_PS2_i.has_indirect_call, 0
	.section	.AMDGPU.csdata,"",@progbits
; Kernel info:
; codeLenInByte = 1188
; TotalNumSgprs: 15
; NumVgprs: 27
; ScratchSize: 0
; MemoryBound: 0
; FloatMode: 240
; IeeeMode: 1
; LDSByteSize: 512 bytes/workgroup (compile time only)
; SGPRBlocks: 0
; VGPRBlocks: 1
; NumSGPRsForWavesPerEU: 15
; NumVGPRsForWavesPerEU: 27
; NamedBarCnt: 0
; Occupancy: 16
; WaveLimiterHint : 0
; COMPUTE_PGM_RSRC2:SCRATCH_EN: 0
; COMPUTE_PGM_RSRC2:USER_SGPR: 2
; COMPUTE_PGM_RSRC2:TRAP_HANDLER: 0
; COMPUTE_PGM_RSRC2:TGID_X_EN: 1
; COMPUTE_PGM_RSRC2:TGID_Y_EN: 0
; COMPUTE_PGM_RSRC2:TGID_Z_EN: 0
; COMPUTE_PGM_RSRC2:TIDIG_COMP_CNT: 0
	.section	.text._Z14LLGemm1_kernelIN3c104HalfELi8EEvPKT_S4_PS2_i,"axG",@progbits,_Z14LLGemm1_kernelIN3c104HalfELi8EEvPKT_S4_PS2_i,comdat
	.protected	_Z14LLGemm1_kernelIN3c104HalfELi8EEvPKT_S4_PS2_i ; -- Begin function _Z14LLGemm1_kernelIN3c104HalfELi8EEvPKT_S4_PS2_i
	.globl	_Z14LLGemm1_kernelIN3c104HalfELi8EEvPKT_S4_PS2_i
	.p2align	8
	.type	_Z14LLGemm1_kernelIN3c104HalfELi8EEvPKT_S4_PS2_i,@function
_Z14LLGemm1_kernelIN3c104HalfELi8EEvPKT_S4_PS2_i: ; @_Z14LLGemm1_kernelIN3c104HalfELi8EEvPKT_S4_PS2_i
; %bb.0:
	s_clause 0x1
	s_load_b96 s[8:10], s[0:1], 0x10
	s_load_b128 s[4:7], s[0:1], 0x0
	s_bfe_u32 s2, ttmp6, 0x4000c
	v_lshlrev_b32_e32 v1, 3, v0
	s_add_co_i32 s2, s2, 1
	s_and_b32 s3, ttmp6, 15
	s_mul_i32 s2, ttmp9, s2
                                        ; implicit-def: $vgpr5
                                        ; implicit-def: $vgpr9
                                        ; implicit-def: $vgpr13
                                        ; implicit-def: $vgpr21
                                        ; implicit-def: $vgpr29
                                        ; implicit-def: $vgpr25
                                        ; implicit-def: $vgpr33
                                        ; implicit-def: $vgpr37
                                        ; implicit-def: $vgpr17
	s_delay_alu instid0(SALU_CYCLE_1) | instskip(SKIP_1) | instid1(SALU_CYCLE_1)
	s_add_co_i32 s2, s3, s2
	s_getreg_b32 s3, hwreg(HW_REG_IB_STS2, 6, 4)
	s_cmp_eq_u32 s3, 0
	s_mov_b32 s3, 0
	s_cselect_b32 s11, ttmp9, s2
	s_wait_kmcnt 0x0
	v_cmp_gt_i32_e32 vcc_lo, s10, v1
	s_and_saveexec_b32 s12, vcc_lo
	s_cbranch_execz .LBB2_2
; %bb.1:
	s_mul_i32 s2, s11, s10
	v_mov_b32_e32 v39, 0
	s_and_b32 s2, s2, 0x1fffffff
	s_delay_alu instid0(SALU_CYCLE_1)
	v_add_nc_u32_e32 v38, s2, v0
	s_lshr_b32 s2, s10, 3
	s_delay_alu instid0(VALU_DEP_1) | instid1(SALU_CYCLE_1)
	v_add3_u32 v4, s2, s2, v38
	v_lshl_add_u64 v[2:3], v[38:39], 4, s[4:5]
	s_delay_alu instid0(VALU_DEP_2) | instskip(NEXT) | instid1(VALU_DEP_2)
	v_add_nc_u32_e32 v40, s2, v4
	v_lshl_add_u64 v[2:3], s[2:3], 4, v[2:3]
	s_clause 0x1
	global_load_b128 v[30:33], v[2:3], off th:TH_LOAD_NT
	global_load_b128 v[22:25], v4, s[4:5] scale_offset th:TH_LOAD_NT
	v_add_nc_u32_e32 v41, s2, v40
	s_delay_alu instid0(VALU_DEP_1) | instskip(NEXT) | instid1(VALU_DEP_1)
	v_add_nc_u32_e32 v39, s2, v41
	v_add_nc_u32_e32 v42, s2, v39
	s_delay_alu instid0(VALU_DEP_1)
	v_add_nc_u32_e32 v43, s2, v42
	s_clause 0x5
	global_load_b128 v[26:29], v40, s[4:5] scale_offset th:TH_LOAD_NT
	global_load_b128 v[18:21], v41, s[4:5] scale_offset th:TH_LOAD_NT
	;; [unrolled: 1-line block ×6, first 2 shown]
	global_load_b128 v[14:17], v0, s[6:7] scale_offset
.LBB2_2:
	s_wait_xcnt 0x0
	s_or_b32 exec_lo, exec_lo, s12
	s_wait_loadcnt 0x0
	v_pk_mul_f16 v34, v14, v34
	v_pk_mul_f16 v30, v14, v30
	;; [unrolled: 1-line block ×5, first 2 shown]
	v_pk_fma_f16 v34, v35, v15, v34
	v_pk_fma_f16 v30, v31, v15, v30
	;; [unrolled: 1-line block ×4, first 2 shown]
	v_pk_mul_f16 v10, v14, v10
	v_pk_fma_f16 v26, v36, v16, v34
	v_pk_fma_f16 v27, v32, v16, v30
	;; [unrolled: 1-line block ×4, first 2 shown]
	v_pk_mul_f16 v2, v14, v2
	v_pk_fma_f16 v24, v37, v17, v26
	v_pk_fma_f16 v26, v33, v17, v27
	v_mbcnt_lo_u32_b32 v27, -1, 0
	v_pk_mul_f16 v18, v14, v18
	v_pk_fma_f16 v10, v11, v15, v10
	v_pk_fma_f16 v6, v8, v16, v6
	;; [unrolled: 1-line block ×3, first 2 shown]
	v_xor_b32_e32 v3, 16, v27
	v_pk_fma_f16 v23, v28, v16, v23
	v_pk_fma_f16 v18, v19, v15, v18
	;; [unrolled: 1-line block ×4, first 2 shown]
	v_lshrrev_b32_e32 v6, 16, v26
	v_cmp_gt_i32_e64 s2, 32, v3
	v_pk_fma_f16 v22, v25, v17, v22
	v_pk_fma_f16 v11, v29, v17, v23
	;; [unrolled: 1-line block ×4, first 2 shown]
	v_dual_lshrrev_b32 v9, 16, v24 :: v_dual_cndmask_b32 v10, v27, v3, s2
	v_pk_fma_f16 v4, v4, v16, v2
	s_delay_alu instid0(VALU_DEP_4)
	v_pk_fma_f16 v8, v21, v17, v7
	v_cvt_f32_f16_e32 v3, v26
	v_cvt_f32_f16_e32 v2, v24
	;; [unrolled: 1-line block ×4, first 2 shown]
	v_dual_lshlrev_b32 v10, 2, v10 :: v_dual_lshrrev_b32 v9, 16, v11
	v_lshrrev_b32_e32 v15, 16, v22
	v_pk_fma_f16 v13, v5, v17, v4
	s_delay_alu instid0(VALU_DEP_4)
	v_pk_add_f32 v[2:3], v[2:3], v[6:7]
	v_cvt_f32_f16_e32 v5, v11
	v_cvt_f32_f16_e32 v4, v22
	;; [unrolled: 1-line block ×3, first 2 shown]
	v_xor_b32_e32 v11, 8, v27
	v_cvt_f32_f16_e32 v6, v15
	v_dual_lshrrev_b32 v9, 16, v12 :: v_dual_lshrrev_b32 v15, 16, v13
	v_lshrrev_b32_e32 v16, 16, v14
	v_cvt_f32_f16_e32 v13, v13
	s_delay_alu instid0(VALU_DEP_4)
	v_pk_add_f32 v[4:5], v[4:5], v[6:7]
	v_cvt_f32_f16_e32 v7, v12
	v_lshrrev_b32_e32 v12, 16, v8
	v_cvt_f32_f16_e32 v6, v8
	v_cvt_f32_f16_e32 v9, v9
	;; [unrolled: 1-line block ×3, first 2 shown]
	v_dual_cndmask_b32 v4, 0, v4 :: v_dual_cndmask_b32 v5, 0, v5
	v_cvt_f32_f16_e32 v8, v12
	v_cvt_f32_f16_e32 v12, v14
	v_cvt_f32_f16_e32 v14, v16
	v_dual_cndmask_b32 v3, 0, v3 :: v_dual_cndmask_b32 v2, 0, v2
	s_delay_alu instid0(VALU_DEP_4) | instskip(SKIP_1) | instid1(VALU_DEP_3)
	v_pk_add_f32 v[6:7], v[6:7], v[8:9]
	s_mov_b32 s3, exec_lo
	v_pk_add_f32 v[8:9], v[12:13], v[14:15]
	ds_bpermute_b32 v12, v10, v4
	ds_bpermute_b32 v13, v10, v5
	v_dual_cndmask_b32 v6, 0, v6 :: v_dual_cndmask_b32 v7, 0, v7
	v_dual_cndmask_b32 v8, 0, v8 :: v_dual_cndmask_b32 v9, 0, v9
	ds_bpermute_b32 v16, v10, v2
	ds_bpermute_b32 v17, v10, v3
	;; [unrolled: 1-line block ×6, first 2 shown]
	v_cmp_gt_i32_e32 vcc_lo, 32, v11
	s_wait_dscnt 0x6
	v_pk_add_f32 v[4:5], v[4:5], v[12:13]
	v_xor_b32_e32 v13, 2, v27
	v_xor_b32_e32 v12, 4, v27
	v_cndmask_b32_e32 v11, v27, v11, vcc_lo
	s_wait_dscnt 0x4
	v_pk_add_f32 v[2:3], v[2:3], v[16:17]
	s_delay_alu instid0(VALU_DEP_3)
	v_cmp_gt_i32_e32 vcc_lo, 32, v12
	s_wait_dscnt 0x2
	v_pk_add_f32 v[6:7], v[6:7], v[14:15]
	s_wait_dscnt 0x0
	v_pk_add_f32 v[8:9], v[8:9], v[18:19]
	v_dual_cndmask_b32 v12, v27, v12 :: v_dual_lshlrev_b32 v11, 2, v11
	v_cmp_gt_i32_e32 vcc_lo, 32, v13
	s_delay_alu instid0(VALU_DEP_2)
	v_lshlrev_b32_e32 v12, 2, v12
	ds_bpermute_b32 v16, v11, v2
	ds_bpermute_b32 v17, v11, v3
	;; [unrolled: 1-line block ×8, first 2 shown]
	v_cndmask_b32_e32 v13, v27, v13, vcc_lo
	s_delay_alu instid0(VALU_DEP_1)
	v_lshlrev_b32_e32 v13, 2, v13
	s_wait_dscnt 0x6
	v_pk_add_f32 v[2:3], v[2:3], v[16:17]
	s_wait_dscnt 0x4
	v_pk_add_f32 v[4:5], v[4:5], v[14:15]
	;; [unrolled: 2-line block ×3, first 2 shown]
	ds_bpermute_b32 v16, v12, v2
	s_wait_dscnt 0x1
	v_pk_add_f32 v[8:9], v[8:9], v[20:21]
	ds_bpermute_b32 v17, v12, v3
	ds_bpermute_b32 v14, v12, v4
	;; [unrolled: 1-line block ×7, first 2 shown]
	s_wait_dscnt 0x6
	v_pk_add_f32 v[2:3], v[2:3], v[16:17]
	s_wait_dscnt 0x4
	v_pk_add_f32 v[4:5], v[4:5], v[14:15]
	v_lshrrev_b32_e32 v14, 5, v0
	s_wait_dscnt 0x2
	v_pk_add_f32 v[18:19], v[6:7], v[18:19]
	s_wait_dscnt 0x0
	v_pk_add_f32 v[20:21], v[8:9], v[20:21]
	v_xor_b32_e32 v8, 1, v27
	ds_bpermute_b32 v16, v13, v2
	ds_bpermute_b32 v17, v13, v3
	;; [unrolled: 1-line block ×8, first 2 shown]
	v_cmp_gt_i32_e32 vcc_lo, 32, v8
	v_cndmask_b32_e32 v8, v27, v8, vcc_lo
	s_delay_alu instid0(VALU_DEP_1)
	v_lshlrev_b32_e32 v15, 2, v8
	s_wait_dscnt 0x6
	v_pk_add_f32 v[8:9], v[2:3], v[16:17]
	v_and_b32_e32 v16, 31, v0
	s_wait_dscnt 0x4
	v_pk_add_f32 v[6:7], v[4:5], v[6:7]
	s_wait_dscnt 0x2
	v_pk_add_f32 v[4:5], v[18:19], v[22:23]
	ds_bpermute_b32 v23, v15, v8
	s_wait_dscnt 0x1
	v_pk_add_f32 v[2:3], v[20:21], v[24:25]
	ds_bpermute_b32 v24, v15, v9
	ds_bpermute_b32 v22, v15, v6
	;; [unrolled: 1-line block ×7, first 2 shown]
	v_cmpx_gt_u32_e32 8, v16
	s_cbranch_execz .LBB2_4
; %bb.3:
	v_cmp_eq_u32_e32 vcc_lo, 1, v16
	v_cmp_eq_u32_e64 s2, 7, v16
	s_wait_dscnt 0x6
	v_dual_cndmask_b32 v23, v23, v24 :: v_dual_cndmask_b32 v8, v8, v9
	v_cmp_eq_u32_e32 vcc_lo, 2, v16
	s_delay_alu instid0(VALU_DEP_2) | instskip(SKIP_1) | instid1(VALU_DEP_3)
	v_cndmask_b32_e32 v6, v8, v6, vcc_lo
	s_wait_dscnt 0x5
	v_cndmask_b32_e32 v9, v23, v22, vcc_lo
	v_cmp_eq_u32_e32 vcc_lo, 3, v16
	s_wait_dscnt 0x4
	s_delay_alu instid0(VALU_DEP_2) | instskip(SKIP_2) | instid1(VALU_DEP_2)
	v_dual_cndmask_b32 v6, v6, v7, vcc_lo :: v_dual_cndmask_b32 v8, v9, v21, vcc_lo
	v_cmp_eq_u32_e32 vcc_lo, 4, v16
	s_wait_dscnt 0x3
	v_cndmask_b32_e32 v7, v8, v20, vcc_lo
	s_delay_alu instid0(VALU_DEP_3) | instskip(SKIP_2) | instid1(VALU_DEP_2)
	v_cndmask_b32_e32 v4, v6, v4, vcc_lo
	v_cmp_eq_u32_e32 vcc_lo, 5, v16
	s_wait_dscnt 0x2
	v_dual_cndmask_b32 v6, v7, v19, vcc_lo :: v_dual_cndmask_b32 v4, v4, v5, vcc_lo
	v_cmp_eq_u32_e32 vcc_lo, 6, v16
	s_wait_dscnt 0x1
	s_delay_alu instid0(VALU_DEP_2) | instskip(SKIP_1) | instid1(VALU_DEP_1)
	v_cndmask_b32_e32 v5, v6, v18, vcc_lo
	s_wait_dscnt 0x0
	v_dual_cndmask_b32 v2, v4, v2, vcc_lo :: v_dual_cndmask_b32 v5, v5, v17, s2
	s_delay_alu instid0(VALU_DEP_1) | instskip(NEXT) | instid1(VALU_DEP_1)
	v_dual_cndmask_b32 v2, v2, v3, s2 :: v_dual_lshlrev_b32 v4, 2, v14
	v_add_f32_e32 v2, v2, v5
	s_delay_alu instid0(VALU_DEP_2)
	v_lshl_or_b32 v3, v16, 7, v4
	ds_store_b32 v3, v2
.LBB2_4:
	s_or_b32 exec_lo, exec_lo, s3
	s_wait_dscnt 0x0
	s_barrier_signal -1
	s_barrier_wait -1
	s_mov_b32 s2, exec_lo
	v_cmpx_gt_u32_e32 0x80, v0
	s_cbranch_execz .LBB2_9
; %bb.5:
	s_load_b32 s0, s[0:1], 0x2c
	v_dual_mov_b32 v0, 0 :: v_dual_bitop2_b32 v2, 15, v0 bitop3:0x40
	s_wait_kmcnt 0x0
	s_and_b32 s0, 0xffff, s0
	s_delay_alu instid0(SALU_CYCLE_1)
	s_lshr_b32 s0, s0, 5
	s_delay_alu instid0(VALU_DEP_1) | instid1(SALU_CYCLE_1)
	v_cmp_gt_u32_e32 vcc_lo, s0, v2
	s_and_saveexec_b32 s0, vcc_lo
; %bb.6:
	v_lshlrev_b32_e32 v0, 2, v2
	s_delay_alu instid0(VALU_DEP_1)
	v_and_or_b32 v0, 0x1f80, v1, v0
	ds_load_b32 v0, v0
; %bb.7:
	s_or_b32 exec_lo, exec_lo, s0
	s_wait_dscnt 0x0
	ds_bpermute_b32 v1, v11, v0
	v_cmp_eq_u32_e32 vcc_lo, 0, v16
	s_wait_dscnt 0x0
	v_add_f32_e32 v0, v0, v1
	ds_bpermute_b32 v1, v12, v0
	s_wait_dscnt 0x0
	v_add_f32_e32 v0, v0, v1
	ds_bpermute_b32 v1, v13, v0
	;; [unrolled: 3-line block ×4, first 2 shown]
	s_and_b32 exec_lo, exec_lo, vcc_lo
	s_cbranch_execz .LBB2_9
; %bb.8:
	s_lshl_b32 s0, s11, 2
	s_wait_dscnt 0x0
	v_cvt_pk_f16_f32 v0, v0, v1
	v_and_or_b32 v1, 0x7ffffffc, s0, v14
	global_store_b32 v1, v0, s[8:9] scale_offset
.LBB2_9:
	s_endpgm
	.section	.rodata,"a",@progbits
	.p2align	6, 0x0
	.amdhsa_kernel _Z14LLGemm1_kernelIN3c104HalfELi8EEvPKT_S4_PS2_i
		.amdhsa_group_segment_fixed_size 1024
		.amdhsa_private_segment_fixed_size 0
		.amdhsa_kernarg_size 288
		.amdhsa_user_sgpr_count 2
		.amdhsa_user_sgpr_dispatch_ptr 0
		.amdhsa_user_sgpr_queue_ptr 0
		.amdhsa_user_sgpr_kernarg_segment_ptr 1
		.amdhsa_user_sgpr_dispatch_id 0
		.amdhsa_user_sgpr_kernarg_preload_length 0
		.amdhsa_user_sgpr_kernarg_preload_offset 0
		.amdhsa_user_sgpr_private_segment_size 0
		.amdhsa_wavefront_size32 1
		.amdhsa_uses_dynamic_stack 0
		.amdhsa_enable_private_segment 0
		.amdhsa_system_sgpr_workgroup_id_x 1
		.amdhsa_system_sgpr_workgroup_id_y 0
		.amdhsa_system_sgpr_workgroup_id_z 0
		.amdhsa_system_sgpr_workgroup_info 0
		.amdhsa_system_vgpr_workitem_id 0
		.amdhsa_next_free_vgpr 44
		.amdhsa_next_free_sgpr 13
		.amdhsa_named_barrier_count 0
		.amdhsa_reserve_vcc 1
		.amdhsa_float_round_mode_32 0
		.amdhsa_float_round_mode_16_64 0
		.amdhsa_float_denorm_mode_32 3
		.amdhsa_float_denorm_mode_16_64 3
		.amdhsa_fp16_overflow 0
		.amdhsa_memory_ordered 1
		.amdhsa_forward_progress 1
		.amdhsa_inst_pref_size 15
		.amdhsa_round_robin_scheduling 0
		.amdhsa_exception_fp_ieee_invalid_op 0
		.amdhsa_exception_fp_denorm_src 0
		.amdhsa_exception_fp_ieee_div_zero 0
		.amdhsa_exception_fp_ieee_overflow 0
		.amdhsa_exception_fp_ieee_underflow 0
		.amdhsa_exception_fp_ieee_inexact 0
		.amdhsa_exception_int_div_zero 0
	.end_amdhsa_kernel
	.section	.text._Z14LLGemm1_kernelIN3c104HalfELi8EEvPKT_S4_PS2_i,"axG",@progbits,_Z14LLGemm1_kernelIN3c104HalfELi8EEvPKT_S4_PS2_i,comdat
.Lfunc_end2:
	.size	_Z14LLGemm1_kernelIN3c104HalfELi8EEvPKT_S4_PS2_i, .Lfunc_end2-_Z14LLGemm1_kernelIN3c104HalfELi8EEvPKT_S4_PS2_i
                                        ; -- End function
	.set _Z14LLGemm1_kernelIN3c104HalfELi8EEvPKT_S4_PS2_i.num_vgpr, 44
	.set _Z14LLGemm1_kernelIN3c104HalfELi8EEvPKT_S4_PS2_i.num_agpr, 0
	.set _Z14LLGemm1_kernelIN3c104HalfELi8EEvPKT_S4_PS2_i.numbered_sgpr, 13
	.set _Z14LLGemm1_kernelIN3c104HalfELi8EEvPKT_S4_PS2_i.num_named_barrier, 0
	.set _Z14LLGemm1_kernelIN3c104HalfELi8EEvPKT_S4_PS2_i.private_seg_size, 0
	.set _Z14LLGemm1_kernelIN3c104HalfELi8EEvPKT_S4_PS2_i.uses_vcc, 1
	.set _Z14LLGemm1_kernelIN3c104HalfELi8EEvPKT_S4_PS2_i.uses_flat_scratch, 0
	.set _Z14LLGemm1_kernelIN3c104HalfELi8EEvPKT_S4_PS2_i.has_dyn_sized_stack, 0
	.set _Z14LLGemm1_kernelIN3c104HalfELi8EEvPKT_S4_PS2_i.has_recursion, 0
	.set _Z14LLGemm1_kernelIN3c104HalfELi8EEvPKT_S4_PS2_i.has_indirect_call, 0
	.section	.AMDGPU.csdata,"",@progbits
; Kernel info:
; codeLenInByte = 1812
; TotalNumSgprs: 15
; NumVgprs: 44
; ScratchSize: 0
; MemoryBound: 0
; FloatMode: 240
; IeeeMode: 1
; LDSByteSize: 1024 bytes/workgroup (compile time only)
; SGPRBlocks: 0
; VGPRBlocks: 2
; NumSGPRsForWavesPerEU: 15
; NumVGPRsForWavesPerEU: 44
; NamedBarCnt: 0
; Occupancy: 16
; WaveLimiterHint : 0
; COMPUTE_PGM_RSRC2:SCRATCH_EN: 0
; COMPUTE_PGM_RSRC2:USER_SGPR: 2
; COMPUTE_PGM_RSRC2:TRAP_HANDLER: 0
; COMPUTE_PGM_RSRC2:TGID_X_EN: 1
; COMPUTE_PGM_RSRC2:TGID_Y_EN: 0
; COMPUTE_PGM_RSRC2:TGID_Z_EN: 0
; COMPUTE_PGM_RSRC2:TIDIG_COMP_CNT: 0
	.section	.text._Z14LLGemm1_kernelIN3c104HalfELi16EEvPKT_S4_PS2_i,"axG",@progbits,_Z14LLGemm1_kernelIN3c104HalfELi16EEvPKT_S4_PS2_i,comdat
	.protected	_Z14LLGemm1_kernelIN3c104HalfELi16EEvPKT_S4_PS2_i ; -- Begin function _Z14LLGemm1_kernelIN3c104HalfELi16EEvPKT_S4_PS2_i
	.globl	_Z14LLGemm1_kernelIN3c104HalfELi16EEvPKT_S4_PS2_i
	.p2align	8
	.type	_Z14LLGemm1_kernelIN3c104HalfELi16EEvPKT_S4_PS2_i,@function
_Z14LLGemm1_kernelIN3c104HalfELi16EEvPKT_S4_PS2_i: ; @_Z14LLGemm1_kernelIN3c104HalfELi16EEvPKT_S4_PS2_i
; %bb.0:
	s_clause 0x1
	s_load_b96 s[8:10], s[0:1], 0x10
	s_load_b128 s[4:7], s[0:1], 0x0
	s_bfe_u32 s2, ttmp6, 0x4000c
	v_lshlrev_b32_e32 v1, 3, v0
	s_add_co_i32 s2, s2, 1
	s_and_b32 s3, ttmp6, 15
	s_mul_i32 s2, ttmp9, s2
                                        ; implicit-def: $vgpr9
                                        ; implicit-def: $vgpr5
                                        ; implicit-def: $vgpr13
                                        ; implicit-def: $vgpr17
                                        ; implicit-def: $vgpr21
                                        ; implicit-def: $vgpr29
                                        ; implicit-def: $vgpr33
                                        ; implicit-def: $vgpr37
                                        ; implicit-def: $vgpr41
                                        ; implicit-def: $vgpr45
                                        ; implicit-def: $vgpr49
                                        ; implicit-def: $vgpr53
                                        ; implicit-def: $vgpr57
                                        ; implicit-def: $vgpr61
                                        ; implicit-def: $vgpr65
                                        ; implicit-def: $vgpr69
                                        ; implicit-def: $vgpr25
	s_delay_alu instid0(SALU_CYCLE_1) | instskip(SKIP_1) | instid1(SALU_CYCLE_1)
	s_add_co_i32 s2, s3, s2
	s_getreg_b32 s3, hwreg(HW_REG_IB_STS2, 6, 4)
	s_cmp_eq_u32 s3, 0
	s_mov_b32 s3, 0
	s_cselect_b32 s11, ttmp9, s2
	s_wait_kmcnt 0x0
	v_cmp_gt_i32_e32 vcc_lo, s10, v1
	s_and_saveexec_b32 s12, vcc_lo
	s_cbranch_execz .LBB3_2
; %bb.1:
	s_mul_i32 s2, s11, s10
	s_delay_alu instid0(SALU_CYCLE_1) | instskip(NEXT) | instid1(SALU_CYCLE_1)
	s_lshl_b32 s2, s2, 1
	s_and_b32 s2, s2, 0x1ffffffe
	s_delay_alu instid0(SALU_CYCLE_1) | instskip(SKIP_2) | instid1(VALU_DEP_1)
	v_add_nc_u32_e32 v6, s2, v0
	s_lshr_b32 s2, s10, 3
	s_and_b32 s10, s10, -8
	v_add3_u32 v4, s2, s2, v6
	s_delay_alu instid0(VALU_DEP_1) | instskip(NEXT) | instid1(VALU_DEP_1)
	v_add_nc_u32_e32 v5, s2, v4
	v_dual_add_nc_u32 v8, s2, v5 :: v_dual_add_nc_u32 v14, s10, v6
	s_delay_alu instid0(VALU_DEP_1) | instskip(NEXT) | instid1(VALU_DEP_1)
	v_add_nc_u32_e32 v9, s2, v8
	v_add_nc_u32_e32 v10, s2, v9
	s_delay_alu instid0(VALU_DEP_1) | instskip(NEXT) | instid1(VALU_DEP_1)
	v_add_nc_u32_e32 v11, s2, v10
	v_lshl_add_u32 v12, s2, 1, v11
	s_delay_alu instid0(VALU_DEP_1) | instskip(NEXT) | instid1(VALU_DEP_1)
	v_dual_mov_b32 v7, 0 :: v_dual_add_nc_u32 v13, s2, v12
	v_lshl_add_u64 v[2:3], v[6:7], 4, s[4:5]
	s_delay_alu instid0(VALU_DEP_2) | instskip(NEXT) | instid1(VALU_DEP_2)
	v_add_nc_u32_e32 v7, s2, v13
	v_lshl_add_u64 v[2:3], s[2:3], 4, v[2:3]
	s_clause 0x1
	global_load_b128 v[58:61], v4, s[4:5] scale_offset th:TH_LOAD_NT
	global_load_b128 v[62:65], v[2:3], off th:TH_LOAD_NT
	v_add_nc_u32_e32 v22, s2, v7
	s_clause 0x7
	global_load_b128 v[54:57], v5, s[4:5] scale_offset th:TH_LOAD_NT
	global_load_b128 v[50:53], v8, s[4:5] scale_offset th:TH_LOAD_NT
	global_load_b128 v[46:49], v9, s[4:5] scale_offset th:TH_LOAD_NT
	global_load_b128 v[42:45], v10, s[4:5] scale_offset th:TH_LOAD_NT
	global_load_b128 v[34:37], v14, s[4:5] scale_offset th:TH_LOAD_NT
	global_load_b128 v[38:41], v11, s[4:5] scale_offset th:TH_LOAD_NT
	global_load_b128 v[30:33], v12, s[4:5] scale_offset th:TH_LOAD_NT
	global_load_b128 v[26:29], v13, s[4:5] scale_offset th:TH_LOAD_NT
	v_add_nc_u32_e32 v23, s2, v22
	s_wait_xcnt 0x6
	s_delay_alu instid0(VALU_DEP_1) | instskip(SKIP_1) | instid1(VALU_DEP_1)
	v_add_nc_u32_e32 v8, s2, v23
	s_wait_xcnt 0x5
	v_add_nc_u32_e32 v9, s2, v8
	s_clause 0x5
	global_load_b128 v[18:21], v7, s[4:5] scale_offset th:TH_LOAD_NT
	global_load_b128 v[14:17], v22, s[4:5] scale_offset th:TH_LOAD_NT
	;; [unrolled: 1-line block ×4, first 2 shown]
	; meta instruction
	; meta instruction
	;; [unrolled: 1-line block ×4, first 2 shown]
	global_load_b128 v[66:69], v6, s[4:5] scale_offset th:TH_LOAD_NT
	global_load_b128 v[6:9], v9, s[4:5] scale_offset th:TH_LOAD_NT
	global_load_b128 v[22:25], v0, s[6:7] scale_offset
.LBB3_2:
	s_wait_xcnt 0x0
	s_or_b32 exec_lo, exec_lo, s12
	s_wait_loadcnt 0x0
	v_pk_mul_f16 v66, v22, v66
	v_pk_mul_f16 v58, v22, v58
	;; [unrolled: 1-line block ×5, first 2 shown]
	v_pk_fma_f16 v66, v67, v23, v66
	v_pk_fma_f16 v58, v59, v23, v58
	;; [unrolled: 1-line block ×3, first 2 shown]
	v_pk_mul_f16 v46, v22, v46
	v_pk_fma_f16 v54, v55, v23, v54
	v_pk_fma_f16 v59, v68, v24, v66
	;; [unrolled: 1-line block ×11, first 2 shown]
	v_cvt_f32_f16_e32 v51, v59
	v_dual_lshrrev_b32 v59, 16, v59 :: v_dual_lshrrev_b32 v61, 16, v58
	v_cvt_f32_f16_e32 v58, v58
	v_pk_fma_f16 v52, v52, v24, v50
	v_pk_fma_f16 v48, v48, v24, v56
	s_delay_alu instid0(VALU_DEP_4) | instskip(SKIP_4) | instid1(VALU_DEP_4)
	v_cvt_f32_f16_e32 v59, v59
	v_cvt_f32_f16_e32 v61, v61
	v_lshrrev_b32_e32 v60, 16, v55
	v_cvt_f32_f16_e32 v55, v55
	v_pk_mul_f16 v42, v22, v42
	v_dual_add_f32 v46, v51, v59 :: v_dual_add_f32 v51, v58, v61
	s_delay_alu instid0(VALU_DEP_4)
	v_cvt_f32_f16_e32 v60, v60
	v_pk_fma_f16 v52, v53, v25, v52
	v_pk_fma_f16 v48, v49, v25, v48
	;; [unrolled: 1-line block ×3, first 2 shown]
	v_dual_cndmask_b32 v50, 0, v51 :: v_dual_lshrrev_b32 v51, 16, v54
	v_dual_add_f32 v47, v55, v60 :: v_dual_cndmask_b32 v46, 0, v46
	v_pk_mul_f16 v38, v22, v38
	v_cvt_f32_f16_e32 v53, v54
	s_delay_alu instid0(VALU_DEP_4) | instskip(NEXT) | instid1(VALU_DEP_4)
	v_cvt_f32_f16_e32 v51, v51
	v_dual_cndmask_b32 v47, 0, v47, vcc_lo :: v_dual_lshrrev_b32 v49, 16, v52
	v_lshrrev_b32_e32 v43, 16, v48
	v_pk_fma_f16 v42, v44, v24, v42
	v_pk_fma_f16 v38, v39, v23, v38
	v_cvt_f32_f16_e32 v52, v52
	v_cvt_f32_f16_e32 v49, v49
	;; [unrolled: 1-line block ×4, first 2 shown]
	v_add_f32_e32 v43, v53, v51
	v_pk_fma_f16 v42, v45, v25, v42
	v_pk_fma_f16 v40, v40, v24, v38
	v_add_f32_e32 v44, v52, v49
	v_add_f32_e32 v39, v48, v39
	s_delay_alu instid0(VALU_DEP_4) | instskip(NEXT) | instid1(VALU_DEP_4)
	v_dual_cndmask_b32 v51, 0, v43, vcc_lo :: v_dual_lshrrev_b32 v43, 16, v42
	v_pk_fma_f16 v40, v41, v25, v40
	v_pk_mul_f16 v34, v22, v34
	s_delay_alu instid0(VALU_DEP_4)
	v_dual_cndmask_b32 v38, 0, v44 :: v_dual_cndmask_b32 v39, 0, v39
	v_cvt_f32_f16_e32 v41, v42
	v_cvt_f32_f16_e32 v42, v43
	v_lshrrev_b32_e32 v43, 16, v40
	v_pk_mul_f16 v30, v22, v30
	v_pk_fma_f16 v34, v35, v23, v34
	v_pk_mul_f16 v26, v22, v26
	v_cvt_f32_f16_e32 v40, v40
	v_cvt_f32_f16_e32 v35, v43
	v_pk_fma_f16 v30, v31, v23, v30
	v_add_f32_e32 v31, v41, v42
	v_pk_fma_f16 v34, v36, v24, v34
	v_pk_fma_f16 v27, v27, v23, v26
	v_add_f32_e32 v35, v40, v35
	v_pk_fma_f16 v30, v32, v24, v30
	v_cndmask_b32_e32 v26, 0, v31, vcc_lo
	v_pk_fma_f16 v31, v37, v25, v34
	v_pk_fma_f16 v28, v28, v24, v27
	v_pk_mul_f16 v18, v22, v18
	v_pk_fma_f16 v30, v33, v25, v30
	v_cndmask_b32_e32 v27, 0, v35, vcc_lo
	v_lshrrev_b32_e32 v32, 16, v31
	v_pk_fma_f16 v28, v29, v25, v28
	v_pk_fma_f16 v18, v19, v23, v18
	v_cvt_f32_f16_e32 v29, v31
	v_lshrrev_b32_e32 v31, 16, v30
	v_cvt_f32_f16_e32 v19, v32
	v_lshrrev_b32_e32 v32, 16, v28
	v_pk_fma_f16 v18, v20, v24, v18
	v_pk_mul_f16 v14, v22, v14
	v_cvt_f32_f16_e32 v30, v30
	v_cvt_f32_f16_e32 v31, v31
	;; [unrolled: 1-line block ×3, first 2 shown]
	v_add_f32_e32 v19, v29, v19
	v_cvt_f32_f16_e32 v28, v32
	v_pk_fma_f16 v21, v21, v25, v18
	v_pk_fma_f16 v15, v15, v23, v14
	v_pk_mul_f16 v10, v22, v10
	v_pk_mul_f16 v2, v22, v2
	;; [unrolled: 1-line block ×3, first 2 shown]
	v_dual_add_f32 v29, v30, v31 :: v_dual_add_f32 v20, v20, v28
	v_lshrrev_b32_e32 v28, 16, v21
	v_pk_fma_f16 v15, v16, v24, v15
	v_pk_fma_f16 v10, v11, v23, v10
	;; [unrolled: 1-line block ×4, first 2 shown]
	v_cndmask_b32_e32 v14, 0, v20, vcc_lo
	v_cvt_f32_f16_e32 v20, v21
	v_cvt_f32_f16_e32 v21, v28
	v_pk_fma_f16 v16, v17, v25, v15
	v_pk_fma_f16 v3, v12, v24, v10
	;; [unrolled: 1-line block ×4, first 2 shown]
	s_delay_alu instid0(VALU_DEP_4) | instskip(NEXT) | instid1(VALU_DEP_4)
	v_dual_add_f32 v11, v20, v21 :: v_dual_lshrrev_b32 v7, 16, v16
	v_pk_fma_f16 v3, v13, v25, v3
	s_delay_alu instid0(VALU_DEP_4) | instskip(NEXT) | instid1(VALU_DEP_4)
	v_pk_fma_f16 v2, v5, v25, v2
	v_pk_fma_f16 v4, v9, v25, v4
	v_mbcnt_lo_u32_b32 v44, -1, 0
	v_cndmask_b32_e32 v15, 0, v11, vcc_lo
	v_cvt_f32_f16_e32 v6, v16
	v_cvt_f32_f16_e32 v7, v7
	v_dual_lshrrev_b32 v5, 16, v3 :: v_dual_lshrrev_b32 v9, 16, v4
	v_dual_lshrrev_b32 v8, 16, v2 :: v_dual_bitop2_b32 v10, 16, v44 bitop3:0x14
	s_delay_alu instid0(VALU_DEP_3) | instskip(SKIP_1) | instid1(VALU_DEP_4)
	v_add_f32_e32 v6, v6, v7
	v_cvt_f32_f16_e32 v3, v3
	v_cvt_f32_f16_e32 v5, v5
	v_cvt_f32_f16_e32 v2, v2
	v_cvt_f32_f16_e32 v8, v8
	v_cvt_f32_f16_e32 v4, v4
	v_cvt_f32_f16_e32 v9, v9
	v_cmp_gt_i32_e64 s2, 32, v10
	s_delay_alu instid0(VALU_DEP_4) | instskip(SKIP_1) | instid1(VALU_DEP_3)
	v_dual_add_f32 v3, v3, v5 :: v_dual_add_f32 v5, v2, v8
	v_dual_cndmask_b32 v18, 0, v19 :: v_dual_cndmask_b32 v19, 0, v29
	v_cndmask_b32_e64 v10, v44, v10, s2
	v_dual_add_f32 v7, v4, v9 :: v_dual_cndmask_b32 v2, 0, v6
	s_delay_alu instid0(VALU_DEP_4) | instskip(NEXT) | instid1(VALU_DEP_2)
	v_dual_cndmask_b32 v4, 0, v5 :: v_dual_cndmask_b32 v3, 0, v3
	v_dual_cndmask_b32 v5, 0, v7 :: v_dual_lshlrev_b32 v34, 2, v10
	v_xor_b32_e32 v28, 8, v44
	v_xor_b32_e32 v36, 4, v44
	;; [unrolled: 1-line block ×3, first 2 shown]
	ds_bpermute_b32 v6, v34, v46
	ds_bpermute_b32 v7, v34, v47
	;; [unrolled: 1-line block ×16, first 2 shown]
	v_cmp_gt_i32_e32 vcc_lo, 32, v28
	s_mov_b32 s2, exec_lo
	v_cndmask_b32_e32 v28, v44, v28, vcc_lo
	v_cmp_gt_i32_e32 vcc_lo, 32, v36
	s_wait_dscnt 0xe
	v_pk_add_f32 v[6:7], v[46:47], v[6:7]
	s_wait_dscnt 0xc
	v_pk_add_f32 v[8:9], v[50:51], v[8:9]
	;; [unrolled: 2-line block ×3, first 2 shown]
	v_lshrrev_b32_e32 v39, 5, v0
	v_cndmask_b32_e32 v36, v44, v36, vcc_lo
	v_cmp_gt_i32_e32 vcc_lo, 32, v37
	s_wait_dscnt 0x8
	v_pk_add_f32 v[12:13], v[26:27], v[12:13]
	s_wait_dscnt 0x6
	v_pk_add_f32 v[16:17], v[18:19], v[16:17]
	;; [unrolled: 2-line block ×3, first 2 shown]
	v_lshlrev_b32_e32 v36, 2, v36
	s_wait_dscnt 0x2
	v_pk_add_f32 v[2:3], v[2:3], v[22:23]
	v_dual_cndmask_b32 v37, v44, v37, vcc_lo :: v_dual_lshlrev_b32 v35, 2, v28
	s_wait_dscnt 0x0
	v_pk_add_f32 v[4:5], v[4:5], v[24:25]
	s_delay_alu instid0(VALU_DEP_2)
	v_lshlrev_b32_e32 v37, 2, v37
	ds_bpermute_b32 v18, v35, v6
	ds_bpermute_b32 v19, v35, v7
	ds_bpermute_b32 v20, v35, v8
	ds_bpermute_b32 v21, v35, v9
	ds_bpermute_b32 v22, v35, v10
	ds_bpermute_b32 v23, v35, v11
	ds_bpermute_b32 v24, v35, v12
	ds_bpermute_b32 v25, v35, v13
	ds_bpermute_b32 v26, v35, v16
	ds_bpermute_b32 v27, v35, v17
	ds_bpermute_b32 v28, v35, v14
	ds_bpermute_b32 v29, v35, v15
	ds_bpermute_b32 v30, v35, v2
	ds_bpermute_b32 v31, v35, v3
	ds_bpermute_b32 v32, v35, v4
	ds_bpermute_b32 v33, v35, v5
	s_wait_dscnt 0xe
	v_pk_add_f32 v[6:7], v[6:7], v[18:19]
	s_wait_dscnt 0xc
	v_pk_add_f32 v[8:9], v[8:9], v[20:21]
	;; [unrolled: 2-line block ×3, first 2 shown]
	ds_bpermute_b32 v18, v36, v6
	s_wait_dscnt 0x9
	v_pk_add_f32 v[12:13], v[12:13], v[24:25]
	ds_bpermute_b32 v19, v36, v7
	s_wait_dscnt 0x8
	v_pk_add_f32 v[16:17], v[16:17], v[26:27]
	;; [unrolled: 3-line block ×5, first 2 shown]
	ds_bpermute_b32 v23, v36, v11
	ds_bpermute_b32 v24, v36, v12
	;; [unrolled: 1-line block ×11, first 2 shown]
	s_wait_dscnt 0xe
	v_pk_add_f32 v[6:7], v[6:7], v[18:19]
	s_wait_dscnt 0xc
	v_pk_add_f32 v[8:9], v[8:9], v[20:21]
	s_wait_dscnt 0xa
	v_pk_add_f32 v[10:11], v[10:11], v[22:23]
	s_wait_dscnt 0x8
	v_pk_add_f32 v[12:13], v[12:13], v[24:25]
	s_wait_dscnt 0x6
	v_pk_add_f32 v[18:19], v[16:17], v[26:27]
	ds_bpermute_b32 v16, v37, v8
	s_wait_dscnt 0x5
	v_pk_add_f32 v[14:15], v[14:15], v[28:29]
	ds_bpermute_b32 v17, v37, v9
	s_wait_dscnt 0x4
	v_pk_add_f32 v[2:3], v[2:3], v[30:31]
	;; [unrolled: 3-line block ×3, first 2 shown]
	ds_bpermute_b32 v4, v37, v6
	ds_bpermute_b32 v5, v37, v7
	;; [unrolled: 1-line block ×13, first 2 shown]
	v_xor_b32_e32 v26, 1, v44
	s_delay_alu instid0(VALU_DEP_1)
	v_cmp_gt_i32_e32 vcc_lo, 32, v26
	s_wait_dscnt 0xb
	v_pk_add_f32 v[28:29], v[6:7], v[4:5]
	v_cndmask_b32_e32 v38, v44, v26, vcc_lo
	v_pk_add_f32 v[26:27], v[8:9], v[16:17]
	s_wait_dscnt 0xa
	v_pk_add_f32 v[16:17], v[10:11], v[22:23]
	s_wait_dscnt 0x8
	;; [unrolled: 2-line block ×3, first 2 shown]
	v_pk_add_f32 v[8:9], v[18:19], v[30:31]
	v_lshlrev_b32_e32 v38, 2, v38
	s_wait_dscnt 0x4
	v_pk_add_f32 v[6:7], v[14:15], v[32:33]
	s_wait_dscnt 0x2
	v_pk_add_f32 v[4:5], v[2:3], v[40:41]
	v_and_b32_e32 v40, 31, v0
	s_wait_dscnt 0x0
	v_pk_add_f32 v[2:3], v[20:21], v[42:43]
	ds_bpermute_b32 v32, v38, v28
	ds_bpermute_b32 v33, v38, v29
	;; [unrolled: 1-line block ×16, first 2 shown]
	v_cmpx_gt_u32_e32 16, v40
	s_cbranch_execz .LBB3_4
; %bb.3:
	s_wait_dscnt 0xe
	v_pk_add_f32 v[28:29], v[28:29], v[32:33]
	v_cmp_eq_u32_e32 vcc_lo, 1, v40
	s_wait_dscnt 0xc
	v_pk_add_f32 v[26:27], v[26:27], v[30:31]
	s_wait_dscnt 0x8
	v_pk_add_f32 v[10:11], v[10:11], v[22:23]
	v_pk_add_f32 v[16:17], v[16:17], v[24:25]
	s_wait_dscnt 0x4
	v_pk_add_f32 v[6:7], v[6:7], v[18:19]
	v_cndmask_b32_e32 v28, v28, v29, vcc_lo
	v_cmp_eq_u32_e32 vcc_lo, 2, v40
	v_pk_add_f32 v[8:9], v[8:9], v[20:21]
	s_wait_dscnt 0x2
	v_pk_add_f32 v[4:5], v[4:5], v[14:15]
	s_wait_dscnt 0x0
	v_pk_add_f32 v[2:3], v[2:3], v[12:13]
	v_cndmask_b32_e32 v26, v28, v26, vcc_lo
	v_cmp_eq_u32_e32 vcc_lo, 3, v40
	s_delay_alu instid0(VALU_DEP_2) | instskip(SKIP_1) | instid1(VALU_DEP_2)
	v_cndmask_b32_e32 v24, v26, v27, vcc_lo
	v_cmp_eq_u32_e32 vcc_lo, 4, v40
	v_cndmask_b32_e32 v16, v24, v16, vcc_lo
	v_cmp_eq_u32_e32 vcc_lo, 5, v40
	s_delay_alu instid0(VALU_DEP_2) | instskip(SKIP_1) | instid1(VALU_DEP_2)
	v_cndmask_b32_e32 v16, v16, v17, vcc_lo
	v_cmp_eq_u32_e32 vcc_lo, 6, v40
	;; [unrolled: 5-line block ×6, first 2 shown]
	v_dual_cndmask_b32 v2, v4, v2 :: v_dual_lshlrev_b32 v5, 2, v39
	v_cmp_eq_u32_e32 vcc_lo, 15, v40
	s_delay_alu instid0(VALU_DEP_2) | instskip(NEXT) | instid1(VALU_DEP_3)
	v_lshl_or_b32 v4, v40, 7, v5
	v_cndmask_b32_e32 v2, v2, v3, vcc_lo
	ds_store_b32 v4, v2
.LBB3_4:
	s_or_b32 exec_lo, exec_lo, s2
	s_wait_dscnt 0x0
	s_barrier_signal -1
	s_barrier_wait -1
	s_mov_b32 s2, exec_lo
	v_cmpx_gt_u32_e32 0x100, v0
	s_cbranch_execz .LBB3_9
; %bb.5:
	s_load_b32 s0, s[0:1], 0x2c
	v_dual_mov_b32 v0, 0 :: v_dual_bitop2_b32 v2, 15, v0 bitop3:0x40
	s_wait_kmcnt 0x0
	s_and_b32 s0, 0xffff, s0
	s_delay_alu instid0(SALU_CYCLE_1)
	s_lshr_b32 s0, s0, 5
	s_delay_alu instid0(VALU_DEP_1) | instid1(SALU_CYCLE_1)
	v_cmp_gt_u32_e32 vcc_lo, s0, v2
	s_and_saveexec_b32 s0, vcc_lo
; %bb.6:
	v_lshlrev_b32_e32 v0, 2, v2
	s_delay_alu instid0(VALU_DEP_1)
	v_and_or_b32 v0, 0x1f80, v1, v0
	ds_load_b32 v0, v0
; %bb.7:
	s_or_b32 exec_lo, exec_lo, s0
	s_wait_dscnt 0x0
	ds_bpermute_b32 v1, v35, v0
	v_cmp_eq_u32_e32 vcc_lo, 0, v40
	s_wait_dscnt 0x0
	v_add_f32_e32 v0, v0, v1
	ds_bpermute_b32 v1, v36, v0
	s_wait_dscnt 0x0
	v_add_f32_e32 v0, v0, v1
	ds_bpermute_b32 v1, v37, v0
	;; [unrolled: 3-line block ×4, first 2 shown]
	s_and_b32 exec_lo, exec_lo, vcc_lo
	s_cbranch_execz .LBB3_9
; %bb.8:
	s_lshl_b32 s0, s11, 3
	s_wait_dscnt 0x0
	v_cvt_pk_f16_f32 v0, v0, v1
	v_and_or_b32 v1, 0x7ffffff8, s0, v39
	global_store_b32 v1, v0, s[8:9] scale_offset
.LBB3_9:
	s_sendmsg sendmsg(MSG_DEALLOC_VGPRS)
	s_endpgm
	.section	.rodata,"a",@progbits
	.p2align	6, 0x0
	.amdhsa_kernel _Z14LLGemm1_kernelIN3c104HalfELi16EEvPKT_S4_PS2_i
		.amdhsa_group_segment_fixed_size 2048
		.amdhsa_private_segment_fixed_size 0
		.amdhsa_kernarg_size 288
		.amdhsa_user_sgpr_count 2
		.amdhsa_user_sgpr_dispatch_ptr 0
		.amdhsa_user_sgpr_queue_ptr 0
		.amdhsa_user_sgpr_kernarg_segment_ptr 1
		.amdhsa_user_sgpr_dispatch_id 0
		.amdhsa_user_sgpr_kernarg_preload_length 0
		.amdhsa_user_sgpr_kernarg_preload_offset 0
		.amdhsa_user_sgpr_private_segment_size 0
		.amdhsa_wavefront_size32 1
		.amdhsa_uses_dynamic_stack 0
		.amdhsa_enable_private_segment 0
		.amdhsa_system_sgpr_workgroup_id_x 1
		.amdhsa_system_sgpr_workgroup_id_y 0
		.amdhsa_system_sgpr_workgroup_id_z 0
		.amdhsa_system_sgpr_workgroup_info 0
		.amdhsa_system_vgpr_workitem_id 0
		.amdhsa_next_free_vgpr 70
		.amdhsa_next_free_sgpr 13
		.amdhsa_named_barrier_count 0
		.amdhsa_reserve_vcc 1
		.amdhsa_float_round_mode_32 0
		.amdhsa_float_round_mode_16_64 0
		.amdhsa_float_denorm_mode_32 3
		.amdhsa_float_denorm_mode_16_64 3
		.amdhsa_fp16_overflow 0
		.amdhsa_memory_ordered 1
		.amdhsa_forward_progress 1
		.amdhsa_inst_pref_size 24
		.amdhsa_round_robin_scheduling 0
		.amdhsa_exception_fp_ieee_invalid_op 0
		.amdhsa_exception_fp_denorm_src 0
		.amdhsa_exception_fp_ieee_div_zero 0
		.amdhsa_exception_fp_ieee_overflow 0
		.amdhsa_exception_fp_ieee_underflow 0
		.amdhsa_exception_fp_ieee_inexact 0
		.amdhsa_exception_int_div_zero 0
	.end_amdhsa_kernel
	.section	.text._Z14LLGemm1_kernelIN3c104HalfELi16EEvPKT_S4_PS2_i,"axG",@progbits,_Z14LLGemm1_kernelIN3c104HalfELi16EEvPKT_S4_PS2_i,comdat
.Lfunc_end3:
	.size	_Z14LLGemm1_kernelIN3c104HalfELi16EEvPKT_S4_PS2_i, .Lfunc_end3-_Z14LLGemm1_kernelIN3c104HalfELi16EEvPKT_S4_PS2_i
                                        ; -- End function
	.set _Z14LLGemm1_kernelIN3c104HalfELi16EEvPKT_S4_PS2_i.num_vgpr, 70
	.set _Z14LLGemm1_kernelIN3c104HalfELi16EEvPKT_S4_PS2_i.num_agpr, 0
	.set _Z14LLGemm1_kernelIN3c104HalfELi16EEvPKT_S4_PS2_i.numbered_sgpr, 13
	.set _Z14LLGemm1_kernelIN3c104HalfELi16EEvPKT_S4_PS2_i.num_named_barrier, 0
	.set _Z14LLGemm1_kernelIN3c104HalfELi16EEvPKT_S4_PS2_i.private_seg_size, 0
	.set _Z14LLGemm1_kernelIN3c104HalfELi16EEvPKT_S4_PS2_i.uses_vcc, 1
	.set _Z14LLGemm1_kernelIN3c104HalfELi16EEvPKT_S4_PS2_i.uses_flat_scratch, 0
	.set _Z14LLGemm1_kernelIN3c104HalfELi16EEvPKT_S4_PS2_i.has_dyn_sized_stack, 0
	.set _Z14LLGemm1_kernelIN3c104HalfELi16EEvPKT_S4_PS2_i.has_recursion, 0
	.set _Z14LLGemm1_kernelIN3c104HalfELi16EEvPKT_S4_PS2_i.has_indirect_call, 0
	.section	.AMDGPU.csdata,"",@progbits
; Kernel info:
; codeLenInByte = 3028
; TotalNumSgprs: 15
; NumVgprs: 70
; ScratchSize: 0
; MemoryBound: 0
; FloatMode: 240
; IeeeMode: 1
; LDSByteSize: 2048 bytes/workgroup (compile time only)
; SGPRBlocks: 0
; VGPRBlocks: 4
; NumSGPRsForWavesPerEU: 15
; NumVGPRsForWavesPerEU: 70
; NamedBarCnt: 0
; Occupancy: 12
; WaveLimiterHint : 0
; COMPUTE_PGM_RSRC2:SCRATCH_EN: 0
; COMPUTE_PGM_RSRC2:USER_SGPR: 2
; COMPUTE_PGM_RSRC2:TRAP_HANDLER: 0
; COMPUTE_PGM_RSRC2:TGID_X_EN: 1
; COMPUTE_PGM_RSRC2:TGID_Y_EN: 0
; COMPUTE_PGM_RSRC2:TGID_Z_EN: 0
; COMPUTE_PGM_RSRC2:TIDIG_COMP_CNT: 0
	.section	.text._Z14LLGemm1_kernelIN3c108BFloat16ELi2EEvPKT_S4_PS2_i,"axG",@progbits,_Z14LLGemm1_kernelIN3c108BFloat16ELi2EEvPKT_S4_PS2_i,comdat
	.protected	_Z14LLGemm1_kernelIN3c108BFloat16ELi2EEvPKT_S4_PS2_i ; -- Begin function _Z14LLGemm1_kernelIN3c108BFloat16ELi2EEvPKT_S4_PS2_i
	.globl	_Z14LLGemm1_kernelIN3c108BFloat16ELi2EEvPKT_S4_PS2_i
	.p2align	8
	.type	_Z14LLGemm1_kernelIN3c108BFloat16ELi2EEvPKT_S4_PS2_i,@function
_Z14LLGemm1_kernelIN3c108BFloat16ELi2EEvPKT_S4_PS2_i: ; @_Z14LLGemm1_kernelIN3c108BFloat16ELi2EEvPKT_S4_PS2_i
; %bb.0:
	s_clause 0x1
	s_load_b96 s[8:10], s[0:1], 0x10
	s_load_b128 s[4:7], s[0:1], 0x0
	s_bfe_u32 s2, ttmp6, 0x4000c
	v_lshlrev_b32_e32 v1, 3, v0
	s_add_co_i32 s2, s2, 1
	s_and_b32 s3, ttmp6, 15
	s_mul_i32 s2, ttmp9, s2
                                        ; implicit-def: $vgpr9
                                        ; implicit-def: $vgpr5
                                        ; implicit-def: $vgpr15
                                        ; implicit-def: $vgpr17
                                        ; implicit-def: $vgpr14
                                        ; implicit-def: $vgpr16
                                        ; implicit-def: $vgpr13
	s_delay_alu instid0(SALU_CYCLE_1) | instskip(SKIP_1) | instid1(SALU_CYCLE_1)
	s_add_co_i32 s2, s3, s2
	s_getreg_b32 s3, hwreg(HW_REG_IB_STS2, 6, 4)
	s_cmp_eq_u32 s3, 0
	s_mov_b32 s3, 0
	s_cselect_b32 s11, ttmp9, s2
	s_wait_kmcnt 0x0
	v_cmp_gt_i32_e32 vcc_lo, s10, v1
	s_and_saveexec_b32 s12, vcc_lo
	s_cbranch_execz .LBB4_2
; %bb.1:
	s_mul_i32 s2, s11, s10
	s_delay_alu instid0(SALU_CYCLE_1) | instskip(NEXT) | instid1(SALU_CYCLE_1)
	s_bfe_u32 s2, s2, 0x1d0002
	v_dual_mov_b32 v15, 0 :: v_dual_add_nc_u32 v14, s2, v0
	s_lshr_b32 s2, s10, 3
	s_delay_alu instid0(VALU_DEP_1) | instskip(NEXT) | instid1(VALU_DEP_1)
	v_lshl_add_u64 v[2:3], v[14:15], 4, s[4:5]
	v_lshl_add_u64 v[16:17], s[2:3], 4, v[2:3]
	s_clause 0x1
	global_load_b128 v[2:5], v14, s[4:5] scale_offset th:TH_LOAD_NT
	global_load_b128 v[6:9], v[16:17], off th:TH_LOAD_NT
	global_load_b128 v[10:13], v0, s[6:7] scale_offset
	s_wait_loadcnt 0x2
	s_wait_xcnt 0x1
	v_perm_b32 v16, v3, v2, 0x7060302
	v_perm_b32 v14, v5, v4, 0x7060302
	s_wait_loadcnt 0x1
	v_perm_b32 v17, v7, v6, 0x7060302
	v_perm_b32 v15, v9, v8, 0x7060302
.LBB4_2:
	s_wait_xcnt 0x0
	s_or_b32 exec_lo, exec_lo, s12
	s_delay_alu instid0(VALU_DEP_2)
	v_perm_b32 v6, v17, v6, 0x5040100
	v_perm_b32 v2, v16, v2, 0x5040100
	v_bfi_b32 v3, 0xffff, v3, v16
	v_bfi_b32 v7, 0xffff, v7, v17
	v_perm_b32 v4, v14, v4, 0x5040100
	s_wait_loadcnt 0x0
	v_pk_mul_bf16 v6, v10, v6
	v_pk_mul_bf16 v2, v10, v2
	v_perm_b32 v8, v15, v8, 0x5040100
	s_delay_alu instid0(VALU_DEP_3) | instskip(NEXT) | instid1(VALU_DEP_3)
	v_pk_fma_bf16 v6, v7, v11, v6
	v_pk_fma_bf16 v2, v3, v11, v2
	v_bfi_b32 v3, 0xffff, v5, v14
	v_bfi_b32 v5, 0xffff, v9, v15
	s_delay_alu instid0(VALU_DEP_4) | instskip(NEXT) | instid1(VALU_DEP_4)
	v_pk_fma_bf16 v6, v8, v12, v6
	v_pk_fma_bf16 v2, v4, v12, v2
	v_mbcnt_lo_u32_b32 v12, -1, 0
	s_delay_alu instid0(VALU_DEP_3) | instskip(NEXT) | instid1(VALU_DEP_3)
	v_pk_fma_bf16 v4, v5, v13, v6
	v_pk_fma_bf16 v6, v3, v13, v2
	s_delay_alu instid0(VALU_DEP_3) | instskip(NEXT) | instid1(VALU_DEP_3)
	v_xor_b32_e32 v7, 16, v12
	v_and_b32_e32 v5, 0xffff0000, v4
	s_delay_alu instid0(VALU_DEP_3) | instskip(NEXT) | instid1(VALU_DEP_3)
	v_lshlrev_b32_e32 v2, 16, v6
	v_cmp_gt_i32_e64 s2, 32, v7
	v_lshlrev_b32_e32 v3, 16, v4
	v_and_b32_e32 v4, 0xffff0000, v6
	s_delay_alu instid0(VALU_DEP_3) | instskip(SKIP_1) | instid1(VALU_DEP_2)
	v_cndmask_b32_e64 v6, v12, v7, s2
	s_mov_b32 s2, exec_lo
	v_pk_add_f32 v[2:3], v[2:3], v[4:5]
	s_delay_alu instid0(VALU_DEP_2) | instskip(NEXT) | instid1(VALU_DEP_2)
	v_dual_lshlrev_b32 v4, 2, v6 :: v_dual_bitop2_b32 v5, 8, v12 bitop3:0x14
	v_dual_cndmask_b32 v3, 0, v3 :: v_dual_cndmask_b32 v2, 0, v2
	s_delay_alu instid0(VALU_DEP_2)
	v_cmp_gt_i32_e32 vcc_lo, 32, v5
	ds_bpermute_b32 v7, v4, v3
	ds_bpermute_b32 v6, v4, v2
	v_cndmask_b32_e32 v5, v12, v5, vcc_lo
	s_wait_dscnt 0x0
	v_pk_add_f32 v[2:3], v[2:3], v[6:7]
	v_xor_b32_e32 v6, 4, v12
	v_xor_b32_e32 v7, 2, v12
	s_delay_alu instid0(VALU_DEP_2)
	v_cmp_gt_i32_e32 vcc_lo, 32, v6
	v_dual_cndmask_b32 v6, v12, v6 :: v_dual_lshlrev_b32 v5, 2, v5
	ds_bpermute_b32 v8, v5, v2
	ds_bpermute_b32 v9, v5, v3
	v_cmp_gt_i32_e32 vcc_lo, 32, v7
	v_dual_cndmask_b32 v7, v12, v7 :: v_dual_lshlrev_b32 v6, 2, v6
	s_wait_dscnt 0x0
	v_pk_add_f32 v[2:3], v[2:3], v[8:9]
	ds_bpermute_b32 v8, v6, v2
	ds_bpermute_b32 v9, v6, v3
	s_wait_dscnt 0x0
	v_pk_add_f32 v[2:3], v[2:3], v[8:9]
	v_xor_b32_e32 v8, 1, v12
	v_and_b32_e32 v9, 31, v0
	s_delay_alu instid0(VALU_DEP_2)
	v_cmp_gt_i32_e32 vcc_lo, 32, v8
	v_dual_cndmask_b32 v8, v12, v8 :: v_dual_lshlrev_b32 v7, 2, v7
	ds_bpermute_b32 v10, v7, v2
	ds_bpermute_b32 v11, v7, v3
	v_lshlrev_b32_e32 v8, 2, v8
	s_wait_dscnt 0x0
	v_pk_add_f32 v[2:3], v[2:3], v[10:11]
	ds_bpermute_b32 v10, v8, v2
	ds_bpermute_b32 v11, v8, v3
	v_cmpx_gt_u32_e32 2, v9
	s_cbranch_execz .LBB4_4
; %bb.3:
	v_cmp_eq_u32_e32 vcc_lo, 1, v9
	s_wait_dscnt 0x0
	v_dual_lshrrev_b32 v12, 3, v0 :: v_dual_cndmask_b32 v10, v10, v11, vcc_lo
	s_delay_alu instid0(VALU_DEP_1) | instskip(SKIP_1) | instid1(VALU_DEP_2)
	v_and_b32_e32 v11, 0x7c, v12
	v_cndmask_b32_e32 v2, v2, v3, vcc_lo
	v_lshl_or_b32 v3, v9, 7, v11
	s_delay_alu instid0(VALU_DEP_2)
	v_add_f32_e32 v2, v2, v10
	ds_store_b32 v3, v2
.LBB4_4:
	s_or_b32 exec_lo, exec_lo, s2
	s_wait_dscnt 0x0
	s_barrier_signal -1
	s_barrier_wait -1
	s_mov_b32 s2, exec_lo
	v_cmpx_gt_u32_e32 32, v0
	s_cbranch_execz .LBB4_9
; %bb.5:
	s_load_b32 s0, s[0:1], 0x2c
	v_dual_mov_b32 v0, 0 :: v_dual_bitop2_b32 v2, 15, v0 bitop3:0x40
	s_wait_kmcnt 0x0
	s_and_b32 s0, 0xffff, s0
	s_delay_alu instid0(SALU_CYCLE_1)
	s_lshr_b32 s0, s0, 5
	s_delay_alu instid0(VALU_DEP_1) | instid1(SALU_CYCLE_1)
	v_cmp_gt_u32_e32 vcc_lo, s0, v2
	s_and_saveexec_b32 s0, vcc_lo
; %bb.6:
	v_lshlrev_b32_e32 v0, 2, v2
	s_delay_alu instid0(VALU_DEP_1)
	v_and_or_b32 v0, 0x1f80, v1, v0
	ds_load_b32 v0, v0
; %bb.7:
	s_or_b32 exec_lo, exec_lo, s0
	s_wait_dscnt 0x0
	ds_bpermute_b32 v1, v5, v0
	v_cmp_eq_u32_e32 vcc_lo, 0, v9
	s_wait_dscnt 0x0
	v_add_f32_e32 v0, v0, v1
	ds_bpermute_b32 v1, v6, v0
	s_wait_dscnt 0x0
	v_add_f32_e32 v0, v0, v1
	ds_bpermute_b32 v1, v7, v0
	;; [unrolled: 3-line block ×4, first 2 shown]
	s_and_b32 exec_lo, exec_lo, vcc_lo
	s_cbranch_execz .LBB4_9
; %bb.8:
	s_and_b32 s0, s11, 0x7fffffff
	s_wait_dscnt 0x0
	v_cvt_pk_bf16_f32 v0, v0, v1
	v_mov_b32_e32 v1, s0
	global_store_b32 v1, v0, s[8:9] scale_offset
.LBB4_9:
	s_endpgm
	.section	.rodata,"a",@progbits
	.p2align	6, 0x0
	.amdhsa_kernel _Z14LLGemm1_kernelIN3c108BFloat16ELi2EEvPKT_S4_PS2_i
		.amdhsa_group_segment_fixed_size 256
		.amdhsa_private_segment_fixed_size 0
		.amdhsa_kernarg_size 288
		.amdhsa_user_sgpr_count 2
		.amdhsa_user_sgpr_dispatch_ptr 0
		.amdhsa_user_sgpr_queue_ptr 0
		.amdhsa_user_sgpr_kernarg_segment_ptr 1
		.amdhsa_user_sgpr_dispatch_id 0
		.amdhsa_user_sgpr_kernarg_preload_length 0
		.amdhsa_user_sgpr_kernarg_preload_offset 0
		.amdhsa_user_sgpr_private_segment_size 0
		.amdhsa_wavefront_size32 1
		.amdhsa_uses_dynamic_stack 0
		.amdhsa_enable_private_segment 0
		.amdhsa_system_sgpr_workgroup_id_x 1
		.amdhsa_system_sgpr_workgroup_id_y 0
		.amdhsa_system_sgpr_workgroup_id_z 0
		.amdhsa_system_sgpr_workgroup_info 0
		.amdhsa_system_vgpr_workitem_id 0
		.amdhsa_next_free_vgpr 18
		.amdhsa_next_free_sgpr 13
		.amdhsa_named_barrier_count 0
		.amdhsa_reserve_vcc 1
		.amdhsa_float_round_mode_32 0
		.amdhsa_float_round_mode_16_64 0
		.amdhsa_float_denorm_mode_32 3
		.amdhsa_float_denorm_mode_16_64 3
		.amdhsa_fp16_overflow 0
		.amdhsa_memory_ordered 1
		.amdhsa_forward_progress 1
		.amdhsa_inst_pref_size 9
		.amdhsa_round_robin_scheduling 0
		.amdhsa_exception_fp_ieee_invalid_op 0
		.amdhsa_exception_fp_denorm_src 0
		.amdhsa_exception_fp_ieee_div_zero 0
		.amdhsa_exception_fp_ieee_overflow 0
		.amdhsa_exception_fp_ieee_underflow 0
		.amdhsa_exception_fp_ieee_inexact 0
		.amdhsa_exception_int_div_zero 0
	.end_amdhsa_kernel
	.section	.text._Z14LLGemm1_kernelIN3c108BFloat16ELi2EEvPKT_S4_PS2_i,"axG",@progbits,_Z14LLGemm1_kernelIN3c108BFloat16ELi2EEvPKT_S4_PS2_i,comdat
.Lfunc_end4:
	.size	_Z14LLGemm1_kernelIN3c108BFloat16ELi2EEvPKT_S4_PS2_i, .Lfunc_end4-_Z14LLGemm1_kernelIN3c108BFloat16ELi2EEvPKT_S4_PS2_i
                                        ; -- End function
	.set _Z14LLGemm1_kernelIN3c108BFloat16ELi2EEvPKT_S4_PS2_i.num_vgpr, 18
	.set _Z14LLGemm1_kernelIN3c108BFloat16ELi2EEvPKT_S4_PS2_i.num_agpr, 0
	.set _Z14LLGemm1_kernelIN3c108BFloat16ELi2EEvPKT_S4_PS2_i.numbered_sgpr, 13
	.set _Z14LLGemm1_kernelIN3c108BFloat16ELi2EEvPKT_S4_PS2_i.num_named_barrier, 0
	.set _Z14LLGemm1_kernelIN3c108BFloat16ELi2EEvPKT_S4_PS2_i.private_seg_size, 0
	.set _Z14LLGemm1_kernelIN3c108BFloat16ELi2EEvPKT_S4_PS2_i.uses_vcc, 1
	.set _Z14LLGemm1_kernelIN3c108BFloat16ELi2EEvPKT_S4_PS2_i.uses_flat_scratch, 0
	.set _Z14LLGemm1_kernelIN3c108BFloat16ELi2EEvPKT_S4_PS2_i.has_dyn_sized_stack, 0
	.set _Z14LLGemm1_kernelIN3c108BFloat16ELi2EEvPKT_S4_PS2_i.has_recursion, 0
	.set _Z14LLGemm1_kernelIN3c108BFloat16ELi2EEvPKT_S4_PS2_i.has_indirect_call, 0
	.section	.AMDGPU.csdata,"",@progbits
; Kernel info:
; codeLenInByte = 1032
; TotalNumSgprs: 15
; NumVgprs: 18
; ScratchSize: 0
; MemoryBound: 0
; FloatMode: 240
; IeeeMode: 1
; LDSByteSize: 256 bytes/workgroup (compile time only)
; SGPRBlocks: 0
; VGPRBlocks: 1
; NumSGPRsForWavesPerEU: 15
; NumVGPRsForWavesPerEU: 18
; NamedBarCnt: 0
; Occupancy: 16
; WaveLimiterHint : 0
; COMPUTE_PGM_RSRC2:SCRATCH_EN: 0
; COMPUTE_PGM_RSRC2:USER_SGPR: 2
; COMPUTE_PGM_RSRC2:TRAP_HANDLER: 0
; COMPUTE_PGM_RSRC2:TGID_X_EN: 1
; COMPUTE_PGM_RSRC2:TGID_Y_EN: 0
; COMPUTE_PGM_RSRC2:TGID_Z_EN: 0
; COMPUTE_PGM_RSRC2:TIDIG_COMP_CNT: 0
	.section	.text._Z14LLGemm1_kernelIN3c108BFloat16ELi4EEvPKT_S4_PS2_i,"axG",@progbits,_Z14LLGemm1_kernelIN3c108BFloat16ELi4EEvPKT_S4_PS2_i,comdat
	.protected	_Z14LLGemm1_kernelIN3c108BFloat16ELi4EEvPKT_S4_PS2_i ; -- Begin function _Z14LLGemm1_kernelIN3c108BFloat16ELi4EEvPKT_S4_PS2_i
	.globl	_Z14LLGemm1_kernelIN3c108BFloat16ELi4EEvPKT_S4_PS2_i
	.p2align	8
	.type	_Z14LLGemm1_kernelIN3c108BFloat16ELi4EEvPKT_S4_PS2_i,@function
_Z14LLGemm1_kernelIN3c108BFloat16ELi4EEvPKT_S4_PS2_i: ; @_Z14LLGemm1_kernelIN3c108BFloat16ELi4EEvPKT_S4_PS2_i
; %bb.0:
	s_clause 0x1
	s_load_b96 s[8:10], s[0:1], 0x10
	s_load_b128 s[4:7], s[0:1], 0x0
	s_bfe_u32 s2, ttmp6, 0x4000c
	v_lshlrev_b32_e32 v1, 3, v0
	s_add_co_i32 s2, s2, 1
	s_and_b32 s3, ttmp6, 15
	s_mul_i32 s2, ttmp9, s2
                                        ; implicit-def: $vgpr2
                                        ; implicit-def: $vgpr17
                                        ; implicit-def: $vgpr13
                                        ; implicit-def: $vgpr9
                                        ; implicit-def: $vgpr23
                                        ; implicit-def: $vgpr26
                                        ; implicit-def: $vgpr22
                                        ; implicit-def: $vgpr25
                                        ; implicit-def: $vgpr24
                                        ; implicit-def: $vgpr27
                                        ; implicit-def: $vgpr21
	s_delay_alu instid0(SALU_CYCLE_1) | instskip(SKIP_1) | instid1(SALU_CYCLE_1)
	s_add_co_i32 s2, s3, s2
	s_getreg_b32 s3, hwreg(HW_REG_IB_STS2, 6, 4)
	s_cmp_eq_u32 s3, 0
	s_mov_b32 s3, 0
	s_cselect_b32 s11, ttmp9, s2
	s_wait_kmcnt 0x0
	v_cmp_gt_i32_e32 vcc_lo, s10, v1
	s_and_saveexec_b32 s12, vcc_lo
	s_cbranch_execz .LBB5_2
; %bb.1:
	s_mul_i32 s2, s11, s10
	s_delay_alu instid0(SALU_CYCLE_1) | instskip(NEXT) | instid1(SALU_CYCLE_1)
	s_bfe_u32 s2, s2, 0x1d0001
	v_dual_mov_b32 v3, 0 :: v_dual_add_nc_u32 v2, s2, v0
	s_lshr_b32 s2, s10, 3
	s_delay_alu instid0(VALU_DEP_1) | instskip(SKIP_1) | instid1(VALU_DEP_2)
	v_lshl_add_u64 v[4:5], v[2:3], 4, s[4:5]
	v_add3_u32 v22, s2, s2, v2
	v_lshl_add_u64 v[4:5], s[2:3], 4, v[4:5]
	s_delay_alu instid0(VALU_DEP_2)
	v_add_nc_u32_e32 v23, s2, v22
	s_clause 0x3
	global_load_b128 v[6:9], v2, s[4:5] scale_offset th:TH_LOAD_NT
	global_load_b128 v[10:13], v[4:5], off th:TH_LOAD_NT
	global_load_b128 v[14:17], v22, s[4:5] scale_offset th:TH_LOAD_NT
	global_load_b128 v[2:5], v23, s[4:5] scale_offset th:TH_LOAD_NT
	global_load_b128 v[18:21], v0, s[6:7] scale_offset
	s_wait_loadcnt 0x2
	v_perm_b32 v26, v15, v14, 0x7060302
	v_perm_b32 v27, v7, v6, 0x7060302
	;; [unrolled: 1-line block ×5, first 2 shown]
	s_wait_xcnt 0x1
	v_perm_b32 v23, v17, v16, 0x7060302
.LBB5_2:
	s_wait_xcnt 0x0
	s_or_b32 exec_lo, exec_lo, s12
	v_perm_b32 v6, v27, v6, 0x5040100
	v_bfi_b32 v7, 0xffff, v7, v27
	v_perm_b32 v10, v25, v10, 0x5040100
	v_perm_b32 v14, v26, v14, 0x5040100
	;; [unrolled: 1-line block ×3, first 2 shown]
	s_wait_loadcnt 0x0
	v_pk_mul_bf16 v6, v18, v6
	v_bfi_b32 v11, 0xffff, v11, v25
	v_bfi_b32 v15, 0xffff, v15, v26
	v_pk_mul_bf16 v10, v18, v10
	v_pk_mul_bf16 v14, v18, v14
	v_pk_fma_bf16 v6, v7, v19, v6
	v_perm_b32 v7, v22, v12, 0x5040100
	v_pk_mul_bf16 v2, v18, v2
	v_pk_fma_bf16 v10, v11, v19, v10
	v_pk_fma_bf16 v11, v15, v19, v14
	;; [unrolled: 1-line block ×3, first 2 shown]
	v_perm_b32 v8, v23, v16, 0x5040100
	v_bfi_b32 v9, 0xffff, v9, v24
	v_pk_fma_bf16 v2, v3, v19, v2
	v_pk_fma_bf16 v3, v7, v20, v10
	v_bfi_b32 v7, 0xffff, v13, v22
	v_pk_fma_bf16 v8, v8, v20, v11
	v_bfi_b32 v10, 0xffff, v17, v23
	v_mbcnt_lo_u32_b32 v16, -1, 0
	v_pk_fma_bf16 v2, v4, v20, v2
	v_pk_fma_bf16 v4, v7, v21, v3
	;; [unrolled: 1-line block ×4, first 2 shown]
	v_xor_b32_e32 v10, 16, v16
	v_pk_fma_bf16 v9, v5, v21, v2
	s_delay_alu instid0(VALU_DEP_4)
	v_dual_lshlrev_b32 v3, 16, v4 :: v_dual_lshlrev_b32 v2, 16, v6
	v_and_b32_e32 v5, 0xffff0000, v4
	v_and_b32_e32 v4, 0xffff0000, v6
	v_cmp_gt_i32_e64 s2, 32, v10
	v_dual_lshlrev_b32 v6, 16, v8 :: v_dual_lshlrev_b32 v7, 16, v9
	v_and_b32_e32 v8, 0xffff0000, v8
	v_and_b32_e32 v9, 0xffff0000, v9
	s_delay_alu instid0(VALU_DEP_4) | instskip(SKIP_2) | instid1(VALU_DEP_3)
	v_cndmask_b32_e64 v10, v16, v10, s2
	v_pk_add_f32 v[2:3], v[2:3], v[4:5]
	s_mov_b32 s3, exec_lo
	v_pk_add_f32 v[4:5], v[6:7], v[8:9]
	s_delay_alu instid0(VALU_DEP_2) | instskip(NEXT) | instid1(VALU_DEP_3)
	v_dual_cndmask_b32 v3, 0, v3 :: v_dual_lshlrev_b32 v6, 2, v10
	v_dual_cndmask_b32 v2, 0, v2, vcc_lo :: v_dual_bitop2_b32 v7, 8, v16 bitop3:0x14
	s_delay_alu instid0(VALU_DEP_3)
	v_dual_cndmask_b32 v5, 0, v5 :: v_dual_cndmask_b32 v4, 0, v4
	ds_bpermute_b32 v9, v6, v3
	ds_bpermute_b32 v8, v6, v2
	v_cmp_gt_i32_e32 vcc_lo, 32, v7
	ds_bpermute_b32 v11, v6, v5
	ds_bpermute_b32 v10, v6, v4
	v_cndmask_b32_e32 v7, v16, v7, vcc_lo
	s_wait_dscnt 0x2
	v_pk_add_f32 v[2:3], v[2:3], v[8:9]
	v_xor_b32_e32 v8, 4, v16
	v_xor_b32_e32 v9, 2, v16
	s_wait_dscnt 0x0
	v_pk_add_f32 v[4:5], v[4:5], v[10:11]
	s_delay_alu instid0(VALU_DEP_3)
	v_cmp_gt_i32_e32 vcc_lo, 32, v8
	v_dual_cndmask_b32 v8, v16, v8 :: v_dual_lshlrev_b32 v7, 2, v7
	ds_bpermute_b32 v10, v7, v2
	ds_bpermute_b32 v11, v7, v3
	;; [unrolled: 1-line block ×4, first 2 shown]
	v_cmp_gt_i32_e32 vcc_lo, 32, v9
	v_dual_cndmask_b32 v9, v16, v9 :: v_dual_lshlrev_b32 v8, 2, v8
	s_delay_alu instid0(VALU_DEP_1)
	v_lshlrev_b32_e32 v9, 2, v9
	s_wait_dscnt 0x2
	v_pk_add_f32 v[2:3], v[2:3], v[10:11]
	s_wait_dscnt 0x0
	v_pk_add_f32 v[4:5], v[4:5], v[12:13]
	ds_bpermute_b32 v10, v8, v2
	ds_bpermute_b32 v11, v8, v3
	;; [unrolled: 1-line block ×4, first 2 shown]
	s_wait_dscnt 0x2
	v_pk_add_f32 v[2:3], v[2:3], v[10:11]
	v_xor_b32_e32 v10, 1, v16
	s_wait_dscnt 0x0
	v_pk_add_f32 v[12:13], v[4:5], v[12:13]
	ds_bpermute_b32 v4, v9, v2
	ds_bpermute_b32 v5, v9, v3
	ds_bpermute_b32 v14, v9, v12
	ds_bpermute_b32 v15, v9, v13
	v_cmp_gt_i32_e32 vcc_lo, 32, v10
	v_cndmask_b32_e32 v10, v16, v10, vcc_lo
	s_delay_alu instid0(VALU_DEP_1)
	v_dual_lshlrev_b32 v11, 2, v10 :: v_dual_lshrrev_b32 v10, 5, v0
	s_wait_dscnt 0x2
	v_pk_add_f32 v[4:5], v[2:3], v[4:5]
	s_wait_dscnt 0x0
	v_pk_add_f32 v[2:3], v[12:13], v[14:15]
	v_and_b32_e32 v12, 31, v0
	ds_bpermute_b32 v15, v11, v4
	ds_bpermute_b32 v16, v11, v5
	;; [unrolled: 1-line block ×4, first 2 shown]
	v_cmpx_gt_u32_e32 4, v12
	s_cbranch_execz .LBB5_4
; %bb.3:
	v_cmp_eq_u32_e32 vcc_lo, 1, v12
	v_cmp_eq_u32_e64 s2, 3, v12
	s_wait_dscnt 0x2
	v_dual_cndmask_b32 v15, v15, v16 :: v_dual_cndmask_b32 v4, v4, v5
	v_cmp_eq_u32_e32 vcc_lo, 2, v12
	s_delay_alu instid0(VALU_DEP_2) | instskip(SKIP_1) | instid1(VALU_DEP_1)
	v_cndmask_b32_e32 v2, v4, v2, vcc_lo
	s_wait_dscnt 0x1
	v_dual_cndmask_b32 v5, v15, v14, vcc_lo :: v_dual_cndmask_b32 v2, v2, v3, s2
	s_wait_dscnt 0x0
	s_delay_alu instid0(VALU_DEP_1) | instskip(NEXT) | instid1(VALU_DEP_1)
	v_dual_cndmask_b32 v5, v5, v13, s2 :: v_dual_lshlrev_b32 v4, 2, v10
	v_add_f32_e32 v2, v2, v5
	s_delay_alu instid0(VALU_DEP_2)
	v_lshl_or_b32 v3, v12, 7, v4
	ds_store_b32 v3, v2
.LBB5_4:
	s_or_b32 exec_lo, exec_lo, s3
	s_wait_dscnt 0x0
	s_barrier_signal -1
	s_barrier_wait -1
	s_mov_b32 s2, exec_lo
	v_cmpx_gt_u32_e32 64, v0
	s_cbranch_execz .LBB5_9
; %bb.5:
	s_load_b32 s0, s[0:1], 0x2c
	v_dual_mov_b32 v0, 0 :: v_dual_bitop2_b32 v2, 15, v0 bitop3:0x40
	s_wait_kmcnt 0x0
	s_and_b32 s0, 0xffff, s0
	s_delay_alu instid0(SALU_CYCLE_1)
	s_lshr_b32 s0, s0, 5
	s_delay_alu instid0(VALU_DEP_1) | instid1(SALU_CYCLE_1)
	v_cmp_gt_u32_e32 vcc_lo, s0, v2
	s_and_saveexec_b32 s0, vcc_lo
; %bb.6:
	v_lshlrev_b32_e32 v0, 2, v2
	s_delay_alu instid0(VALU_DEP_1)
	v_and_or_b32 v0, 0x1f80, v1, v0
	ds_load_b32 v0, v0
; %bb.7:
	s_or_b32 exec_lo, exec_lo, s0
	s_wait_dscnt 0x0
	ds_bpermute_b32 v1, v7, v0
	v_cmp_eq_u32_e32 vcc_lo, 0, v12
	s_wait_dscnt 0x0
	v_add_f32_e32 v0, v0, v1
	ds_bpermute_b32 v1, v8, v0
	s_wait_dscnt 0x0
	v_add_f32_e32 v0, v0, v1
	ds_bpermute_b32 v1, v9, v0
	;; [unrolled: 3-line block ×4, first 2 shown]
	s_and_b32 exec_lo, exec_lo, vcc_lo
	s_cbranch_execz .LBB5_9
; %bb.8:
	s_lshl_b32 s0, s11, 1
	s_wait_dscnt 0x0
	v_cvt_pk_bf16_f32 v0, v0, v1
	v_and_or_b32 v2, 0x7ffffffe, s0, v10
	global_store_b32 v2, v0, s[8:9] scale_offset
.LBB5_9:
	s_endpgm
	.section	.rodata,"a",@progbits
	.p2align	6, 0x0
	.amdhsa_kernel _Z14LLGemm1_kernelIN3c108BFloat16ELi4EEvPKT_S4_PS2_i
		.amdhsa_group_segment_fixed_size 512
		.amdhsa_private_segment_fixed_size 0
		.amdhsa_kernarg_size 288
		.amdhsa_user_sgpr_count 2
		.amdhsa_user_sgpr_dispatch_ptr 0
		.amdhsa_user_sgpr_queue_ptr 0
		.amdhsa_user_sgpr_kernarg_segment_ptr 1
		.amdhsa_user_sgpr_dispatch_id 0
		.amdhsa_user_sgpr_kernarg_preload_length 0
		.amdhsa_user_sgpr_kernarg_preload_offset 0
		.amdhsa_user_sgpr_private_segment_size 0
		.amdhsa_wavefront_size32 1
		.amdhsa_uses_dynamic_stack 0
		.amdhsa_enable_private_segment 0
		.amdhsa_system_sgpr_workgroup_id_x 1
		.amdhsa_system_sgpr_workgroup_id_y 0
		.amdhsa_system_sgpr_workgroup_id_z 0
		.amdhsa_system_sgpr_workgroup_info 0
		.amdhsa_system_vgpr_workitem_id 0
		.amdhsa_next_free_vgpr 28
		.amdhsa_next_free_sgpr 13
		.amdhsa_named_barrier_count 0
		.amdhsa_reserve_vcc 1
		.amdhsa_float_round_mode_32 0
		.amdhsa_float_round_mode_16_64 0
		.amdhsa_float_denorm_mode_32 3
		.amdhsa_float_denorm_mode_16_64 3
		.amdhsa_fp16_overflow 0
		.amdhsa_memory_ordered 1
		.amdhsa_forward_progress 1
		.amdhsa_inst_pref_size 12
		.amdhsa_round_robin_scheduling 0
		.amdhsa_exception_fp_ieee_invalid_op 0
		.amdhsa_exception_fp_denorm_src 0
		.amdhsa_exception_fp_ieee_div_zero 0
		.amdhsa_exception_fp_ieee_overflow 0
		.amdhsa_exception_fp_ieee_underflow 0
		.amdhsa_exception_fp_ieee_inexact 0
		.amdhsa_exception_int_div_zero 0
	.end_amdhsa_kernel
	.section	.text._Z14LLGemm1_kernelIN3c108BFloat16ELi4EEvPKT_S4_PS2_i,"axG",@progbits,_Z14LLGemm1_kernelIN3c108BFloat16ELi4EEvPKT_S4_PS2_i,comdat
.Lfunc_end5:
	.size	_Z14LLGemm1_kernelIN3c108BFloat16ELi4EEvPKT_S4_PS2_i, .Lfunc_end5-_Z14LLGemm1_kernelIN3c108BFloat16ELi4EEvPKT_S4_PS2_i
                                        ; -- End function
	.set _Z14LLGemm1_kernelIN3c108BFloat16ELi4EEvPKT_S4_PS2_i.num_vgpr, 28
	.set _Z14LLGemm1_kernelIN3c108BFloat16ELi4EEvPKT_S4_PS2_i.num_agpr, 0
	.set _Z14LLGemm1_kernelIN3c108BFloat16ELi4EEvPKT_S4_PS2_i.numbered_sgpr, 13
	.set _Z14LLGemm1_kernelIN3c108BFloat16ELi4EEvPKT_S4_PS2_i.num_named_barrier, 0
	.set _Z14LLGemm1_kernelIN3c108BFloat16ELi4EEvPKT_S4_PS2_i.private_seg_size, 0
	.set _Z14LLGemm1_kernelIN3c108BFloat16ELi4EEvPKT_S4_PS2_i.uses_vcc, 1
	.set _Z14LLGemm1_kernelIN3c108BFloat16ELi4EEvPKT_S4_PS2_i.uses_flat_scratch, 0
	.set _Z14LLGemm1_kernelIN3c108BFloat16ELi4EEvPKT_S4_PS2_i.has_dyn_sized_stack, 0
	.set _Z14LLGemm1_kernelIN3c108BFloat16ELi4EEvPKT_S4_PS2_i.has_recursion, 0
	.set _Z14LLGemm1_kernelIN3c108BFloat16ELi4EEvPKT_S4_PS2_i.has_indirect_call, 0
	.section	.AMDGPU.csdata,"",@progbits
; Kernel info:
; codeLenInByte = 1412
; TotalNumSgprs: 15
; NumVgprs: 28
; ScratchSize: 0
; MemoryBound: 0
; FloatMode: 240
; IeeeMode: 1
; LDSByteSize: 512 bytes/workgroup (compile time only)
; SGPRBlocks: 0
; VGPRBlocks: 1
; NumSGPRsForWavesPerEU: 15
; NumVGPRsForWavesPerEU: 28
; NamedBarCnt: 0
; Occupancy: 16
; WaveLimiterHint : 0
; COMPUTE_PGM_RSRC2:SCRATCH_EN: 0
; COMPUTE_PGM_RSRC2:USER_SGPR: 2
; COMPUTE_PGM_RSRC2:TRAP_HANDLER: 0
; COMPUTE_PGM_RSRC2:TGID_X_EN: 1
; COMPUTE_PGM_RSRC2:TGID_Y_EN: 0
; COMPUTE_PGM_RSRC2:TGID_Z_EN: 0
; COMPUTE_PGM_RSRC2:TIDIG_COMP_CNT: 0
	.section	.text._Z14LLGemm1_kernelIN3c108BFloat16ELi8EEvPKT_S4_PS2_i,"axG",@progbits,_Z14LLGemm1_kernelIN3c108BFloat16ELi8EEvPKT_S4_PS2_i,comdat
	.protected	_Z14LLGemm1_kernelIN3c108BFloat16ELi8EEvPKT_S4_PS2_i ; -- Begin function _Z14LLGemm1_kernelIN3c108BFloat16ELi8EEvPKT_S4_PS2_i
	.globl	_Z14LLGemm1_kernelIN3c108BFloat16ELi8EEvPKT_S4_PS2_i
	.p2align	8
	.type	_Z14LLGemm1_kernelIN3c108BFloat16ELi8EEvPKT_S4_PS2_i,@function
_Z14LLGemm1_kernelIN3c108BFloat16ELi8EEvPKT_S4_PS2_i: ; @_Z14LLGemm1_kernelIN3c108BFloat16ELi8EEvPKT_S4_PS2_i
; %bb.0:
	s_clause 0x1
	s_load_b96 s[8:10], s[0:1], 0x10
	s_load_b128 s[4:7], s[0:1], 0x0
	s_bfe_u32 s2, ttmp6, 0x4000c
	v_lshlrev_b32_e32 v1, 3, v0
	s_add_co_i32 s2, s2, 1
	s_and_b32 s3, ttmp6, 15
	s_mul_i32 s2, ttmp9, s2
                                        ; implicit-def: $vgpr14
                                        ; implicit-def: $vgpr10
                                        ; implicit-def: $vgpr18
                                        ; implicit-def: $vgpr2
                                        ; implicit-def: $vgpr6
                                        ; implicit-def: $vgpr38
                                        ; implicit-def: $vgpr29
                                        ; implicit-def: $vgpr40
                                        ; implicit-def: $vgpr42
                                        ; implicit-def: $vgpr44
                                        ; implicit-def: $vgpr39
                                        ; implicit-def: $vgpr33
                                        ; implicit-def: $vgpr41
                                        ; implicit-def: $vgpr43
                                        ; implicit-def: $vgpr45
                                        ; implicit-def: $vgpr46
                                        ; implicit-def: $vgpr37
                                        ; implicit-def: $vgpr47
                                        ; implicit-def: $vgpr48
                                        ; implicit-def: $vgpr49
                                        ; implicit-def: $vgpr25
	s_delay_alu instid0(SALU_CYCLE_1) | instskip(SKIP_1) | instid1(SALU_CYCLE_1)
	s_add_co_i32 s2, s3, s2
	s_getreg_b32 s3, hwreg(HW_REG_IB_STS2, 6, 4)
	s_cmp_eq_u32 s3, 0
	s_mov_b32 s3, 0
	s_cselect_b32 s11, ttmp9, s2
	s_wait_kmcnt 0x0
	v_cmp_gt_i32_e32 vcc_lo, s10, v1
	s_and_saveexec_b32 s12, vcc_lo
	s_cbranch_execz .LBB6_2
; %bb.1:
	s_mul_i32 s2, s11, s10
	v_mov_b32_e32 v3, 0
	s_and_b32 s2, s2, 0x1fffffff
	s_delay_alu instid0(SALU_CYCLE_1) | instskip(SKIP_1) | instid1(VALU_DEP_1)
	v_add_nc_u32_e32 v2, s2, v0
	s_lshr_b32 s2, s10, 3
	v_lshl_add_u64 v[4:5], v[2:3], 4, s[4:5]
	v_add3_u32 v6, s2, s2, v2
	s_delay_alu instid0(VALU_DEP_2) | instskip(NEXT) | instid1(VALU_DEP_2)
	v_lshl_add_u64 v[4:5], s[2:3], 4, v[4:5]
	v_add_nc_u32_e32 v38, s2, v6
	s_clause 0x2
	global_load_b128 v[34:37], v2, s[4:5] scale_offset th:TH_LOAD_NT
	global_load_b128 v[30:33], v[4:5], off th:TH_LOAD_NT
	global_load_b128 v[26:29], v6, s[4:5] scale_offset th:TH_LOAD_NT
	v_add_nc_u32_e32 v39, s2, v38
	s_delay_alu instid0(VALU_DEP_1) | instskip(NEXT) | instid1(VALU_DEP_1)
	v_add_nc_u32_e32 v40, s2, v39
	v_add_nc_u32_e32 v41, s2, v40
	s_wait_loadcnt 0x2
	s_delay_alu instid0(VALU_DEP_1)
	v_dual_add_nc_u32 v42, s2, v41 :: v_dual_lshrrev_b32 v49, 16, v34
	s_clause 0x4
	global_load_b128 v[14:17], v38, s[4:5] scale_offset th:TH_LOAD_NT
	global_load_b128 v[10:13], v39, s[4:5] scale_offset th:TH_LOAD_NT
	;; [unrolled: 1-line block ×5, first 2 shown]
	global_load_b128 v[22:25], v0, s[6:7] scale_offset
	v_dual_lshrrev_b32 v48, 16, v35 :: v_dual_lshrrev_b32 v47, 16, v36
	s_wait_loadcnt 0x7
	v_dual_lshrrev_b32 v46, 16, v37 :: v_dual_lshrrev_b32 v45, 16, v30
	s_wait_xcnt 0x2
	v_dual_lshrrev_b32 v43, 16, v31 :: v_dual_lshrrev_b32 v41, 16, v32
	s_wait_loadcnt 0x6
	v_dual_lshrrev_b32 v39, 16, v33 :: v_dual_lshrrev_b32 v44, 16, v26
	s_wait_xcnt 0x1
	v_dual_lshrrev_b32 v42, 16, v27 :: v_dual_lshrrev_b32 v40, 16, v28
	v_lshrrev_b32_e32 v38, 16, v29
.LBB6_2:
	s_wait_xcnt 0x0
	s_or_b32 exec_lo, exec_lo, s12
	v_perm_b32 v30, v45, v30, 0x5040100
	v_perm_b32 v34, v49, v34, 0x5040100
	;; [unrolled: 1-line block ×5, first 2 shown]
	s_wait_loadcnt 0x0
	v_pk_mul_bf16 v30, v22, v30
	v_pk_mul_bf16 v34, v22, v34
	v_perm_b32 v27, v42, v27, 0x5040100
	v_pk_mul_bf16 v26, v22, v26
	v_perm_b32 v32, v41, v32, 0x5040100
	v_pk_fma_bf16 v30, v31, v23, v30
	v_pk_mul_bf16 v10, v22, v10
	v_perm_b32 v36, v47, v36, 0x5040100
	v_pk_fma_bf16 v34, v35, v23, v34
	v_pk_fma_bf16 v26, v27, v23, v26
	v_perm_b32 v27, v39, v33, 0x5040100
	v_pk_mul_bf16 v14, v22, v14
	v_pk_fma_bf16 v30, v32, v24, v30
	v_pk_fma_bf16 v10, v11, v23, v10
	v_perm_b32 v37, v46, v37, 0x5040100
	v_perm_b32 v28, v40, v28, 0x5040100
	v_pk_fma_bf16 v31, v36, v24, v34
	v_pk_fma_bf16 v14, v15, v23, v14
	v_pk_mul_bf16 v15, v22, v18
	v_pk_fma_bf16 v18, v27, v25, v30
	v_pk_mul_bf16 v2, v22, v2
	v_pk_mul_bf16 v6, v22, v6
	v_pk_fma_bf16 v10, v12, v24, v10
	v_mbcnt_lo_u32_b32 v27, -1, 0
	v_pk_fma_bf16 v31, v37, v25, v31
	v_pk_fma_bf16 v26, v28, v24, v26
	v_perm_b32 v28, v38, v29, 0x5040100
	v_pk_fma_bf16 v14, v16, v24, v14
	v_pk_fma_bf16 v11, v19, v23, v15
	;; [unrolled: 1-line block ×5, first 2 shown]
	v_xor_b32_e32 v10, 16, v27
	v_pk_fma_bf16 v26, v28, v25, v26
	v_pk_fma_bf16 v14, v17, v25, v14
	;; [unrolled: 1-line block ×5, first 2 shown]
	v_lshlrev_b32_e32 v3, 16, v18
	v_and_b32_e32 v7, 0xffff0000, v18
	v_and_b32_e32 v6, 0xffff0000, v31
	v_cmp_gt_i32_e64 s2, 32, v10
	v_lshlrev_b32_e32 v2, 16, v31
	v_pk_fma_bf16 v11, v21, v25, v11
	v_pk_fma_bf16 v16, v5, v25, v4
	;; [unrolled: 1-line block ×3, first 2 shown]
	v_cndmask_b32_e64 v8, v27, v10, s2
	v_pk_add_f32 v[2:3], v[2:3], v[6:7]
	v_lshlrev_b32_e32 v4, 16, v26
	v_dual_lshlrev_b32 v5, 16, v14 :: v_dual_bitop2_b32 v20, 8, v27 bitop3:0x14
	v_and_b32_e32 v6, 0xffff0000, v26
	v_and_b32_e32 v7, 0xffff0000, v14
	v_lshlrev_b32_e32 v10, 2, v8
	v_and_b32_e32 v9, 0xffff0000, v11
	v_and_b32_e32 v8, 0xffff0000, v12
	v_lshlrev_b32_e32 v13, 16, v15
	v_pk_add_f32 v[4:5], v[4:5], v[6:7]
	v_dual_lshlrev_b32 v7, 16, v11 :: v_dual_lshlrev_b32 v6, 16, v12
	v_lshlrev_b32_e32 v12, 16, v16
	v_and_b32_e32 v15, 0xffff0000, v15
	v_and_b32_e32 v14, 0xffff0000, v16
	v_dual_cndmask_b32 v4, 0, v4 :: v_dual_cndmask_b32 v5, 0, v5
	v_pk_add_f32 v[6:7], v[6:7], v[8:9]
	v_dual_cndmask_b32 v3, 0, v3 :: v_dual_cndmask_b32 v2, 0, v2
	s_delay_alu instid0(VALU_DEP_4)
	v_pk_add_f32 v[8:9], v[12:13], v[14:15]
	ds_bpermute_b32 v12, v10, v4
	v_dual_cndmask_b32 v6, 0, v6 :: v_dual_cndmask_b32 v7, 0, v7
	ds_bpermute_b32 v13, v10, v5
	v_dual_cndmask_b32 v8, 0, v8 :: v_dual_cndmask_b32 v9, 0, v9
	ds_bpermute_b32 v16, v10, v2
	ds_bpermute_b32 v17, v10, v3
	;; [unrolled: 1-line block ×6, first 2 shown]
	v_cmp_gt_i32_e32 vcc_lo, 32, v20
	s_mov_b32 s3, exec_lo
	v_cndmask_b32_e32 v11, v27, v20, vcc_lo
	s_wait_dscnt 0x6
	v_pk_add_f32 v[4:5], v[4:5], v[12:13]
	v_xor_b32_e32 v12, 4, v27
	v_xor_b32_e32 v13, 2, v27
	s_wait_dscnt 0x4
	v_pk_add_f32 v[2:3], v[2:3], v[16:17]
	s_wait_dscnt 0x2
	v_pk_add_f32 v[6:7], v[6:7], v[14:15]
	v_cmp_gt_i32_e32 vcc_lo, 32, v12
	v_lshlrev_b32_e32 v11, 2, v11
	s_wait_dscnt 0x0
	v_pk_add_f32 v[8:9], v[8:9], v[18:19]
	v_cndmask_b32_e32 v12, v27, v12, vcc_lo
	ds_bpermute_b32 v16, v11, v2
	ds_bpermute_b32 v17, v11, v3
	;; [unrolled: 1-line block ×8, first 2 shown]
	v_lshlrev_b32_e32 v12, 2, v12
	v_cmp_gt_i32_e32 vcc_lo, 32, v13
	v_cndmask_b32_e32 v13, v27, v13, vcc_lo
	s_wait_dscnt 0x6
	v_pk_add_f32 v[2:3], v[2:3], v[16:17]
	s_wait_dscnt 0x4
	v_pk_add_f32 v[6:7], v[6:7], v[18:19]
	;; [unrolled: 2-line block ×3, first 2 shown]
	ds_bpermute_b32 v16, v12, v2
	s_wait_dscnt 0x1
	v_pk_add_f32 v[4:5], v[4:5], v[14:15]
	ds_bpermute_b32 v17, v12, v3
	ds_bpermute_b32 v18, v12, v6
	;; [unrolled: 1-line block ×7, first 2 shown]
	s_wait_dscnt 0x6
	v_pk_add_f32 v[2:3], v[2:3], v[16:17]
	s_wait_dscnt 0x4
	v_pk_add_f32 v[16:17], v[6:7], v[18:19]
	;; [unrolled: 2-line block ×3, first 2 shown]
	v_xor_b32_e32 v8, 1, v27
	s_wait_dscnt 0x0
	v_pk_add_f32 v[4:5], v[4:5], v[14:15]
	s_delay_alu instid0(VALU_DEP_2)
	v_cmp_gt_i32_e32 vcc_lo, 32, v8
	v_dual_cndmask_b32 v24, v27, v8 :: v_dual_lshlrev_b32 v13, 2, v13
	ds_bpermute_b32 v14, v13, v2
	ds_bpermute_b32 v15, v13, v3
	;; [unrolled: 1-line block ×8, first 2 shown]
	s_wait_dscnt 0x6
	v_pk_add_f32 v[8:9], v[2:3], v[14:15]
	v_lshlrev_b32_e32 v15, 2, v24
	s_wait_dscnt 0x4
	v_pk_add_f32 v[6:7], v[4:5], v[6:7]
	v_lshrrev_b32_e32 v14, 5, v0
	s_wait_dscnt 0x2
	v_pk_add_f32 v[4:5], v[16:17], v[20:21]
	v_and_b32_e32 v16, 31, v0
	s_wait_dscnt 0x0
	v_pk_add_f32 v[2:3], v[18:19], v[22:23]
	ds_bpermute_b32 v23, v15, v8
	ds_bpermute_b32 v24, v15, v9
	;; [unrolled: 1-line block ×8, first 2 shown]
	v_cmpx_gt_u32_e32 8, v16
	s_cbranch_execz .LBB6_4
; %bb.3:
	v_cmp_eq_u32_e32 vcc_lo, 1, v16
	v_cmp_eq_u32_e64 s2, 7, v16
	s_wait_dscnt 0x6
	v_dual_cndmask_b32 v23, v23, v24 :: v_dual_cndmask_b32 v8, v8, v9
	v_cmp_eq_u32_e32 vcc_lo, 2, v16
	s_delay_alu instid0(VALU_DEP_2) | instskip(SKIP_1) | instid1(VALU_DEP_3)
	v_cndmask_b32_e32 v6, v8, v6, vcc_lo
	s_wait_dscnt 0x5
	v_cndmask_b32_e32 v9, v23, v22, vcc_lo
	v_cmp_eq_u32_e32 vcc_lo, 3, v16
	s_wait_dscnt 0x4
	s_delay_alu instid0(VALU_DEP_2) | instskip(SKIP_2) | instid1(VALU_DEP_2)
	v_dual_cndmask_b32 v6, v6, v7, vcc_lo :: v_dual_cndmask_b32 v8, v9, v21, vcc_lo
	v_cmp_eq_u32_e32 vcc_lo, 4, v16
	s_wait_dscnt 0x3
	v_cndmask_b32_e32 v7, v8, v20, vcc_lo
	s_delay_alu instid0(VALU_DEP_3) | instskip(SKIP_2) | instid1(VALU_DEP_2)
	v_cndmask_b32_e32 v4, v6, v4, vcc_lo
	v_cmp_eq_u32_e32 vcc_lo, 5, v16
	s_wait_dscnt 0x2
	v_dual_cndmask_b32 v6, v7, v19, vcc_lo :: v_dual_cndmask_b32 v4, v4, v5, vcc_lo
	v_cmp_eq_u32_e32 vcc_lo, 6, v16
	s_wait_dscnt 0x1
	s_delay_alu instid0(VALU_DEP_2) | instskip(SKIP_1) | instid1(VALU_DEP_1)
	v_cndmask_b32_e32 v5, v6, v18, vcc_lo
	s_wait_dscnt 0x0
	v_dual_cndmask_b32 v2, v4, v2, vcc_lo :: v_dual_cndmask_b32 v5, v5, v17, s2
	s_delay_alu instid0(VALU_DEP_1) | instskip(NEXT) | instid1(VALU_DEP_1)
	v_dual_cndmask_b32 v2, v2, v3, s2 :: v_dual_lshlrev_b32 v4, 2, v14
	v_add_f32_e32 v2, v2, v5
	s_delay_alu instid0(VALU_DEP_2)
	v_lshl_or_b32 v3, v16, 7, v4
	ds_store_b32 v3, v2
.LBB6_4:
	s_or_b32 exec_lo, exec_lo, s3
	s_wait_dscnt 0x0
	s_barrier_signal -1
	s_barrier_wait -1
	s_mov_b32 s2, exec_lo
	v_cmpx_gt_u32_e32 0x80, v0
	s_cbranch_execz .LBB6_9
; %bb.5:
	s_load_b32 s0, s[0:1], 0x2c
	v_dual_mov_b32 v0, 0 :: v_dual_bitop2_b32 v2, 15, v0 bitop3:0x40
	s_wait_kmcnt 0x0
	s_and_b32 s0, 0xffff, s0
	s_delay_alu instid0(SALU_CYCLE_1)
	s_lshr_b32 s0, s0, 5
	s_delay_alu instid0(VALU_DEP_1) | instid1(SALU_CYCLE_1)
	v_cmp_gt_u32_e32 vcc_lo, s0, v2
	s_and_saveexec_b32 s0, vcc_lo
; %bb.6:
	v_lshlrev_b32_e32 v0, 2, v2
	s_delay_alu instid0(VALU_DEP_1)
	v_and_or_b32 v0, 0x1f80, v1, v0
	ds_load_b32 v0, v0
; %bb.7:
	s_or_b32 exec_lo, exec_lo, s0
	s_wait_dscnt 0x0
	ds_bpermute_b32 v1, v11, v0
	v_cmp_eq_u32_e32 vcc_lo, 0, v16
	s_wait_dscnt 0x0
	v_add_f32_e32 v0, v0, v1
	ds_bpermute_b32 v1, v12, v0
	s_wait_dscnt 0x0
	v_add_f32_e32 v0, v0, v1
	ds_bpermute_b32 v1, v13, v0
	;; [unrolled: 3-line block ×4, first 2 shown]
	s_and_b32 exec_lo, exec_lo, vcc_lo
	s_cbranch_execz .LBB6_9
; %bb.8:
	s_lshl_b32 s0, s11, 2
	s_wait_dscnt 0x0
	v_cvt_pk_bf16_f32 v0, v0, v1
	v_and_or_b32 v2, 0x7ffffffc, s0, v14
	global_store_b32 v2, v0, s[8:9] scale_offset
.LBB6_9:
	s_endpgm
	.section	.rodata,"a",@progbits
	.p2align	6, 0x0
	.amdhsa_kernel _Z14LLGemm1_kernelIN3c108BFloat16ELi8EEvPKT_S4_PS2_i
		.amdhsa_group_segment_fixed_size 1024
		.amdhsa_private_segment_fixed_size 0
		.amdhsa_kernarg_size 288
		.amdhsa_user_sgpr_count 2
		.amdhsa_user_sgpr_dispatch_ptr 0
		.amdhsa_user_sgpr_queue_ptr 0
		.amdhsa_user_sgpr_kernarg_segment_ptr 1
		.amdhsa_user_sgpr_dispatch_id 0
		.amdhsa_user_sgpr_kernarg_preload_length 0
		.amdhsa_user_sgpr_kernarg_preload_offset 0
		.amdhsa_user_sgpr_private_segment_size 0
		.amdhsa_wavefront_size32 1
		.amdhsa_uses_dynamic_stack 0
		.amdhsa_enable_private_segment 0
		.amdhsa_system_sgpr_workgroup_id_x 1
		.amdhsa_system_sgpr_workgroup_id_y 0
		.amdhsa_system_sgpr_workgroup_id_z 0
		.amdhsa_system_sgpr_workgroup_info 0
		.amdhsa_system_vgpr_workitem_id 0
		.amdhsa_next_free_vgpr 50
		.amdhsa_next_free_sgpr 13
		.amdhsa_named_barrier_count 0
		.amdhsa_reserve_vcc 1
		.amdhsa_float_round_mode_32 0
		.amdhsa_float_round_mode_16_64 0
		.amdhsa_float_denorm_mode_32 3
		.amdhsa_float_denorm_mode_16_64 3
		.amdhsa_fp16_overflow 0
		.amdhsa_memory_ordered 1
		.amdhsa_forward_progress 1
		.amdhsa_inst_pref_size 16
		.amdhsa_round_robin_scheduling 0
		.amdhsa_exception_fp_ieee_invalid_op 0
		.amdhsa_exception_fp_denorm_src 0
		.amdhsa_exception_fp_ieee_div_zero 0
		.amdhsa_exception_fp_ieee_overflow 0
		.amdhsa_exception_fp_ieee_underflow 0
		.amdhsa_exception_fp_ieee_inexact 0
		.amdhsa_exception_int_div_zero 0
	.end_amdhsa_kernel
	.section	.text._Z14LLGemm1_kernelIN3c108BFloat16ELi8EEvPKT_S4_PS2_i,"axG",@progbits,_Z14LLGemm1_kernelIN3c108BFloat16ELi8EEvPKT_S4_PS2_i,comdat
.Lfunc_end6:
	.size	_Z14LLGemm1_kernelIN3c108BFloat16ELi8EEvPKT_S4_PS2_i, .Lfunc_end6-_Z14LLGemm1_kernelIN3c108BFloat16ELi8EEvPKT_S4_PS2_i
                                        ; -- End function
	.set _Z14LLGemm1_kernelIN3c108BFloat16ELi8EEvPKT_S4_PS2_i.num_vgpr, 50
	.set _Z14LLGemm1_kernelIN3c108BFloat16ELi8EEvPKT_S4_PS2_i.num_agpr, 0
	.set _Z14LLGemm1_kernelIN3c108BFloat16ELi8EEvPKT_S4_PS2_i.numbered_sgpr, 13
	.set _Z14LLGemm1_kernelIN3c108BFloat16ELi8EEvPKT_S4_PS2_i.num_named_barrier, 0
	.set _Z14LLGemm1_kernelIN3c108BFloat16ELi8EEvPKT_S4_PS2_i.private_seg_size, 0
	.set _Z14LLGemm1_kernelIN3c108BFloat16ELi8EEvPKT_S4_PS2_i.uses_vcc, 1
	.set _Z14LLGemm1_kernelIN3c108BFloat16ELi8EEvPKT_S4_PS2_i.uses_flat_scratch, 0
	.set _Z14LLGemm1_kernelIN3c108BFloat16ELi8EEvPKT_S4_PS2_i.has_dyn_sized_stack, 0
	.set _Z14LLGemm1_kernelIN3c108BFloat16ELi8EEvPKT_S4_PS2_i.has_recursion, 0
	.set _Z14LLGemm1_kernelIN3c108BFloat16ELi8EEvPKT_S4_PS2_i.has_indirect_call, 0
	.section	.AMDGPU.csdata,"",@progbits
; Kernel info:
; codeLenInByte = 2020
; TotalNumSgprs: 15
; NumVgprs: 50
; ScratchSize: 0
; MemoryBound: 0
; FloatMode: 240
; IeeeMode: 1
; LDSByteSize: 1024 bytes/workgroup (compile time only)
; SGPRBlocks: 0
; VGPRBlocks: 3
; NumSGPRsForWavesPerEU: 15
; NumVGPRsForWavesPerEU: 50
; NamedBarCnt: 0
; Occupancy: 16
; WaveLimiterHint : 0
; COMPUTE_PGM_RSRC2:SCRATCH_EN: 0
; COMPUTE_PGM_RSRC2:USER_SGPR: 2
; COMPUTE_PGM_RSRC2:TRAP_HANDLER: 0
; COMPUTE_PGM_RSRC2:TGID_X_EN: 1
; COMPUTE_PGM_RSRC2:TGID_Y_EN: 0
; COMPUTE_PGM_RSRC2:TGID_Z_EN: 0
; COMPUTE_PGM_RSRC2:TIDIG_COMP_CNT: 0
	.section	.text._Z14LLGemm1_kernelIN3c108BFloat16ELi16EEvPKT_S4_PS2_i,"axG",@progbits,_Z14LLGemm1_kernelIN3c108BFloat16ELi16EEvPKT_S4_PS2_i,comdat
	.protected	_Z14LLGemm1_kernelIN3c108BFloat16ELi16EEvPKT_S4_PS2_i ; -- Begin function _Z14LLGemm1_kernelIN3c108BFloat16ELi16EEvPKT_S4_PS2_i
	.globl	_Z14LLGemm1_kernelIN3c108BFloat16ELi16EEvPKT_S4_PS2_i
	.p2align	8
	.type	_Z14LLGemm1_kernelIN3c108BFloat16ELi16EEvPKT_S4_PS2_i,@function
_Z14LLGemm1_kernelIN3c108BFloat16ELi16EEvPKT_S4_PS2_i: ; @_Z14LLGemm1_kernelIN3c108BFloat16ELi16EEvPKT_S4_PS2_i
; %bb.0:
	s_clause 0x1
	s_load_b96 s[8:10], s[0:1], 0x10
	s_load_b128 s[4:7], s[0:1], 0x0
	s_bfe_u32 s2, ttmp6, 0x4000c
	v_lshlrev_b32_e32 v1, 3, v0
	s_add_co_i32 s2, s2, 1
	s_and_b32 s3, ttmp6, 15
	s_mul_i32 s2, ttmp9, s2
                                        ; implicit-def: $vgpr61
                                        ; implicit-def: $vgpr42
                                        ; implicit-def: $vgpr46
                                        ; implicit-def: $vgpr30
                                        ; implicit-def: $vgpr10
                                        ; implicit-def: $vgpr54
                                        ; implicit-def: $vgpr18
                                        ; implicit-def: $vgpr26
                                        ; implicit-def: $vgpr22
                                        ; implicit-def: $vgpr14
                                        ; implicit-def: $vgpr6
                                        ; implicit-def: $vgpr2
                                        ; implicit-def: $vgpr70
                                        ; implicit-def: $vgpr71
                                        ; implicit-def: $vgpr72
                                        ; implicit-def: $vgpr73
                                        ; implicit-def: $vgpr74
                                        ; implicit-def: $vgpr75
                                        ; implicit-def: $vgpr76
                                        ; implicit-def: $vgpr77
                                        ; implicit-def: $vgpr78
                                        ; implicit-def: $vgpr79
                                        ; implicit-def: $vgpr80
                                        ; implicit-def: $vgpr34
                                        ; implicit-def: $vgpr38
                                        ; implicit-def: $vgpr65
                                        ; implicit-def: $vgpr69
                                        ; implicit-def: $vgpr53
	s_delay_alu instid0(SALU_CYCLE_1) | instskip(SKIP_1) | instid1(SALU_CYCLE_1)
	s_add_co_i32 s2, s3, s2
	s_getreg_b32 s3, hwreg(HW_REG_IB_STS2, 6, 4)
	s_cmp_eq_u32 s3, 0
	s_mov_b32 s3, 0
	s_cselect_b32 s11, ttmp9, s2
	s_wait_kmcnt 0x0
	v_cmp_gt_i32_e32 vcc_lo, s10, v1
	s_and_saveexec_b32 s12, vcc_lo
	s_cbranch_execz .LBB7_2
; %bb.1:
	s_mul_i32 s2, s11, s10
	s_delay_alu instid0(SALU_CYCLE_1) | instskip(NEXT) | instid1(SALU_CYCLE_1)
	s_lshl_b32 s2, s2, 1
	s_and_b32 s2, s2, 0x1ffffffe
	s_delay_alu instid0(SALU_CYCLE_1) | instskip(SKIP_2) | instid1(VALU_DEP_1)
	v_add_nc_u32_e32 v2, s2, v0
	s_lshr_b32 s2, s10, 3
	s_and_b32 s10, s10, -8
	v_add3_u32 v6, s2, s2, v2
	s_delay_alu instid0(VALU_DEP_1) | instskip(SKIP_2) | instid1(VALU_DEP_1)
	v_add_nc_u32_e32 v7, s2, v6
	global_load_b128 v[66:69], v2, s[4:5] scale_offset th:TH_LOAD_NT
	v_add_nc_u32_e32 v8, s2, v7
	v_add_nc_u32_e32 v9, s2, v8
	s_delay_alu instid0(VALU_DEP_1) | instskip(NEXT) | instid1(VALU_DEP_1)
	v_add_nc_u32_e32 v14, s2, v9
	v_add_nc_u32_e32 v15, s2, v14
	s_delay_alu instid0(VALU_DEP_1) | instskip(NEXT) | instid1(VALU_DEP_1)
	v_lshl_add_u32 v16, s2, 1, v15
	v_dual_mov_b32 v3, 0 :: v_dual_add_nc_u32 v17, s2, v16
	s_delay_alu instid0(VALU_DEP_1) | instskip(SKIP_1) | instid1(VALU_DEP_2)
	v_lshl_add_u64 v[4:5], v[2:3], 4, s[4:5]
	s_wait_xcnt 0x0
	v_dual_add_nc_u32 v2, s10, v2 :: v_dual_add_nc_u32 v34, s2, v17
	s_delay_alu instid0(VALU_DEP_2)
	v_lshl_add_u64 v[4:5], s[2:3], 4, v[4:5]
	s_clause 0x1
	global_load_b128 v[58:61], v6, s[4:5] scale_offset th:TH_LOAD_NT
	global_load_b128 v[62:65], v[4:5], off th:TH_LOAD_NT
	v_add_nc_u32_e32 v35, s2, v34
	s_clause 0x7
	global_load_b128 v[42:45], v7, s[4:5] scale_offset th:TH_LOAD_NT
	global_load_b128 v[46:49], v8, s[4:5] scale_offset th:TH_LOAD_NT
	;; [unrolled: 1-line block ×8, first 2 shown]
	v_add_nc_u32_e32 v36, s2, v35
	s_delay_alu instid0(VALU_DEP_1) | instskip(NEXT) | instid1(VALU_DEP_1)
	v_add_nc_u32_e32 v37, s2, v36
	v_add_nc_u32_e32 v38, s2, v37
	s_clause 0x4
	global_load_b128 v[14:17], v34, s[4:5] scale_offset th:TH_LOAD_NT
	global_load_b128 v[6:9], v35, s[4:5] scale_offset th:TH_LOAD_NT
	;; [unrolled: 1-line block ×3, first 2 shown]
	; meta instruction
	; meta instruction
	;; [unrolled: 1-line block ×3, first 2 shown]
	global_load_b128 v[34:37], v37, s[4:5] scale_offset th:TH_LOAD_NT
	global_load_b128 v[38:41], v38, s[4:5] scale_offset th:TH_LOAD_NT
	global_load_b128 v[50:53], v0, s[6:7] scale_offset
	s_wait_loadcnt 0x10
	v_dual_lshrrev_b32 v80, 16, v66 :: v_dual_lshrrev_b32 v79, 16, v67
	v_dual_lshrrev_b32 v78, 16, v68 :: v_dual_lshrrev_b32 v77, 16, v69
	s_wait_loadcnt 0xf
	v_dual_lshrrev_b32 v72, 16, v58 :: v_dual_lshrrev_b32 v71, 16, v59
	s_wait_loadcnt 0xe
	v_dual_lshrrev_b32 v70, 16, v60 :: v_dual_lshrrev_b32 v76, 16, v62
	v_dual_lshrrev_b32 v75, 16, v63 :: v_dual_lshrrev_b32 v74, 16, v64
	v_lshrrev_b32_e32 v73, 16, v65
.LBB7_2:
	s_wait_xcnt 0x0
	s_or_b32 exec_lo, exec_lo, s12
	v_perm_b32 v66, v80, v66, 0x5040100
	v_perm_b32 v67, v79, v67, 0x5040100
	;; [unrolled: 1-line block ×5, first 2 shown]
	s_wait_loadcnt 0x0
	v_pk_mul_bf16 v66, v50, v66
	v_perm_b32 v58, v72, v58, 0x5040100
	v_pk_mul_bf16 v62, v50, v62
	v_perm_b32 v69, v77, v69, 0x5040100
	v_perm_b32 v64, v74, v64, 0x5040100
	v_pk_fma_bf16 v66, v67, v51, v66
	v_perm_b32 v59, v71, v59, 0x5040100
	v_pk_mul_bf16 v58, v50, v58
	v_pk_fma_bf16 v62, v63, v51, v62
	v_perm_b32 v65, v73, v65, 0x5040100
	v_pk_fma_bf16 v66, v68, v52, v66
	v_perm_b32 v60, v70, v60, 0x5040100
	v_pk_fma_bf16 v58, v59, v51, v58
	v_pk_fma_bf16 v62, v64, v52, v62
	v_bfi_b32 v61, 0xffff, v61, v61
	v_pk_fma_bf16 v59, v69, v53, v66
	v_pk_mul_bf16 v42, v50, v42
	v_pk_fma_bf16 v58, v60, v52, v58
	v_pk_fma_bf16 v62, v65, v53, v62
	v_pk_mul_bf16 v46, v50, v46
	v_lshlrev_b32_e32 v60, 16, v59
	v_and_b32_e32 v59, 0xffff0000, v59
	v_pk_mul_bf16 v63, v50, v30
	v_pk_fma_bf16 v30, v61, v53, v58
	v_pk_fma_bf16 v42, v43, v51, v42
	s_delay_alu instid0(VALU_DEP_4) | instskip(SKIP_1) | instid1(VALU_DEP_4)
	v_dual_add_f32 v43, v60, v59 :: v_dual_lshlrev_b32 v58, 16, v62
	v_and_b32_e32 v59, 0xffff0000, v62
	v_lshlrev_b32_e32 v60, 16, v30
	v_and_b32_e32 v61, 0xffff0000, v30
	v_pk_fma_bf16 v42, v44, v52, v42
	v_cndmask_b32_e32 v30, 0, v43, vcc_lo
	v_pk_fma_bf16 v43, v47, v51, v46
	v_pk_fma_bf16 v47, v31, v51, v63
	v_add_f32_e32 v46, v60, v61
	v_pk_mul_bf16 v10, v50, v10
	v_add_f32_e32 v44, v58, v59
	v_pk_fma_bf16 v43, v48, v52, v43
	v_pk_fma_bf16 v32, v32, v52, v47
	;; [unrolled: 1-line block ×3, first 2 shown]
	v_cndmask_b32_e32 v42, 0, v46, vcc_lo
	v_pk_mul_bf16 v46, v50, v54
	v_pk_fma_bf16 v43, v49, v53, v43
	v_pk_fma_bf16 v32, v33, v53, v32
	;; [unrolled: 1-line block ×3, first 2 shown]
	v_dual_cndmask_b32 v31, 0, v44 :: v_dual_lshlrev_b32 v44, 16, v45
	v_and_b32_e32 v45, 0xffff0000, v45
	s_delay_alu instid0(VALU_DEP_4) | instskip(SKIP_4) | instid1(VALU_DEP_4)
	v_dual_lshlrev_b32 v33, 16, v43 :: v_dual_lshlrev_b32 v11, 16, v32
	v_and_b32_e32 v43, 0xffff0000, v43
	v_and_b32_e32 v32, 0xffff0000, v32
	v_pk_fma_bf16 v46, v55, v51, v46
	v_pk_fma_bf16 v10, v12, v52, v10
	v_dual_add_f32 v44, v44, v45 :: v_dual_add_f32 v12, v33, v43
	v_pk_mul_bf16 v18, v50, v18
	v_pk_mul_bf16 v26, v50, v26
	s_delay_alu instid0(VALU_DEP_4)
	v_pk_fma_bf16 v13, v13, v53, v10
	v_add_f32_e32 v11, v11, v32
	v_pk_fma_bf16 v32, v56, v52, v46
	v_cndmask_b32_e32 v10, 0, v12, vcc_lo
	v_pk_fma_bf16 v18, v19, v51, v18
	v_pk_mul_bf16 v19, v50, v22
	v_pk_fma_bf16 v22, v27, v51, v26
	v_pk_fma_bf16 v12, v57, v53, v32
	v_lshlrev_b32_e32 v32, 16, v13
	v_and_b32_e32 v13, 0xffff0000, v13
	v_pk_fma_bf16 v19, v23, v51, v19
	v_pk_mul_bf16 v14, v50, v14
	v_lshlrev_b32_e32 v33, 16, v12
	v_and_b32_e32 v12, 0xffff0000, v12
	v_add_f32_e32 v13, v32, v13
	v_pk_fma_bf16 v18, v20, v52, v18
	v_pk_fma_bf16 v22, v28, v52, v22
	;; [unrolled: 1-line block ×3, first 2 shown]
	v_add_f32_e32 v20, v33, v12
	v_pk_fma_bf16 v14, v15, v51, v14
	v_pk_mul_bf16 v6, v50, v6
	v_cndmask_b32_e32 v12, 0, v13, vcc_lo
	v_pk_fma_bf16 v18, v21, v53, v18
	v_cndmask_b32_e32 v13, 0, v20, vcc_lo
	v_pk_fma_bf16 v20, v29, v53, v22
	v_pk_fma_bf16 v19, v25, v53, v19
	;; [unrolled: 1-line block ×4, first 2 shown]
	v_pk_mul_bf16 v2, v50, v2
	v_dual_lshlrev_b32 v21, 16, v18 :: v_dual_lshlrev_b32 v22, 16, v20
	v_and_b32_e32 v18, 0xffff0000, v18
	v_and_b32_e32 v15, 0xffff0000, v20
	v_lshlrev_b32_e32 v20, 16, v19
	v_and_b32_e32 v19, 0xffff0000, v19
	v_pk_fma_bf16 v16, v17, v53, v16
	v_pk_fma_bf16 v7, v8, v52, v7
	v_pk_mul_bf16 v8, v50, v34
	v_pk_fma_bf16 v2, v3, v51, v2
	v_pk_mul_bf16 v3, v50, v38
	v_dual_add_f32 v18, v21, v18 :: v_dual_add_f32 v15, v22, v15
	v_dual_add_f32 v19, v20, v19 :: v_dual_lshlrev_b32 v17, 16, v16
	v_and_b32_e32 v16, 0xffff0000, v16
	v_pk_fma_bf16 v8, v35, v51, v8
	v_pk_fma_bf16 v3, v39, v51, v3
	v_dual_cndmask_b32 v14, 0, v18 :: v_dual_cndmask_b32 v15, 0, v15
	s_delay_alu instid0(VALU_DEP_4)
	v_add_f32_e32 v16, v17, v16
	v_pk_fma_bf16 v2, v4, v52, v2
	v_pk_fma_bf16 v8, v36, v52, v8
	v_pk_fma_bf16 v3, v40, v52, v3
	v_mbcnt_lo_u32_b32 v38, -1, 0
	v_cndmask_b32_e32 v6, 0, v19, vcc_lo
	v_pk_fma_bf16 v9, v9, v53, v7
	v_cndmask_b32_e32 v7, 0, v16, vcc_lo
	v_pk_fma_bf16 v2, v5, v53, v2
	v_pk_fma_bf16 v8, v37, v53, v8
	;; [unrolled: 1-line block ×3, first 2 shown]
	v_dual_lshlrev_b32 v4, 16, v9 :: v_dual_bitop2_b32 v16, 16, v38 bitop3:0x14
	v_and_b32_e32 v5, 0xffff0000, v9
	v_lshlrev_b32_e32 v9, 16, v2
	v_and_b32_e32 v2, 0xffff0000, v2
	v_lshlrev_b32_e32 v17, 16, v8
	v_and_b32_e32 v8, 0xffff0000, v8
	v_cmp_gt_i32_e64 s2, 32, v16
	v_lshlrev_b32_e32 v18, 16, v3
	v_and_b32_e32 v3, 0xffff0000, v3
	v_dual_add_f32 v4, v4, v5 :: v_dual_add_f32 v5, v9, v2
	s_delay_alu instid0(VALU_DEP_4) | instskip(NEXT) | instid1(VALU_DEP_3)
	v_cndmask_b32_e64 v16, v38, v16, s2
	v_dual_add_f32 v8, v17, v8 :: v_dual_add_f32 v9, v18, v3
	v_dual_cndmask_b32 v43, 0, v44, vcc_lo :: v_dual_cndmask_b32 v11, 0, v11, vcc_lo
	s_delay_alu instid0(VALU_DEP_3) | instskip(NEXT) | instid1(VALU_DEP_3)
	v_dual_cndmask_b32 v3, 0, v5 :: v_dual_lshlrev_b32 v34, 2, v16
	v_dual_cndmask_b32 v2, 0, v4 :: v_dual_cndmask_b32 v5, 0, v9
	s_delay_alu instid0(VALU_DEP_4)
	v_dual_cndmask_b32 v4, 0, v8, vcc_lo :: v_dual_bitop2_b32 v32, 8, v38 bitop3:0x14
	ds_bpermute_b32 v8, v34, v30
	ds_bpermute_b32 v9, v34, v31
	;; [unrolled: 1-line block ×16, first 2 shown]
	v_cmp_gt_i32_e32 vcc_lo, 32, v32
	v_xor_b32_e32 v36, 4, v38
	v_dual_lshrrev_b32 v39, 5, v0 :: v_dual_bitop2_b32 v37, 2, v38 bitop3:0x14
	s_mov_b32 s2, exec_lo
	v_cndmask_b32_e32 v32, v38, v32, vcc_lo
	s_wait_dscnt 0xe
	v_pk_add_f32 v[8:9], v[30:31], v[8:9]
	s_wait_dscnt 0xc
	v_pk_add_f32 v[16:17], v[42:43], v[16:17]
	v_cmp_gt_i32_e32 vcc_lo, 32, v36
	s_wait_dscnt 0xa
	v_pk_add_f32 v[10:11], v[10:11], v[18:19]
	v_lshlrev_b32_e32 v35, 2, v32
	s_wait_dscnt 0x8
	v_pk_add_f32 v[12:13], v[12:13], v[20:21]
	s_wait_dscnt 0x6
	v_pk_add_f32 v[14:15], v[14:15], v[22:23]
	v_cndmask_b32_e32 v36, v38, v36, vcc_lo
	s_wait_dscnt 0x4
	v_pk_add_f32 v[6:7], v[6:7], v[24:25]
	ds_bpermute_b32 v18, v35, v8
	s_wait_dscnt 0x3
	v_pk_add_f32 v[2:3], v[2:3], v[26:27]
	ds_bpermute_b32 v19, v35, v9
	;; [unrolled: 3-line block ×3, first 2 shown]
	ds_bpermute_b32 v21, v35, v17
	ds_bpermute_b32 v22, v35, v10
	;; [unrolled: 1-line block ×13, first 2 shown]
	v_cmp_gt_i32_e32 vcc_lo, 32, v37
	s_wait_dscnt 0xe
	v_pk_add_f32 v[8:9], v[8:9], v[18:19]
	v_dual_cndmask_b32 v37, v38, v37 :: v_dual_lshlrev_b32 v36, 2, v36
	s_wait_dscnt 0xc
	v_pk_add_f32 v[16:17], v[16:17], v[20:21]
	s_wait_dscnt 0xa
	v_pk_add_f32 v[10:11], v[10:11], v[22:23]
	v_lshlrev_b32_e32 v37, 2, v37
	s_wait_dscnt 0x8
	v_pk_add_f32 v[12:13], v[12:13], v[24:25]
	ds_bpermute_b32 v18, v36, v8
	s_wait_dscnt 0x7
	v_pk_add_f32 v[14:15], v[14:15], v[26:27]
	ds_bpermute_b32 v19, v36, v9
	;; [unrolled: 3-line block ×5, first 2 shown]
	ds_bpermute_b32 v23, v36, v11
	ds_bpermute_b32 v24, v36, v12
	ds_bpermute_b32 v25, v36, v13
	ds_bpermute_b32 v26, v36, v14
	ds_bpermute_b32 v27, v36, v15
	ds_bpermute_b32 v28, v36, v6
	ds_bpermute_b32 v29, v36, v7
	ds_bpermute_b32 v30, v36, v2
	ds_bpermute_b32 v31, v36, v3
	ds_bpermute_b32 v32, v36, v4
	ds_bpermute_b32 v33, v36, v5
	s_wait_dscnt 0xe
	v_pk_add_f32 v[8:9], v[8:9], v[18:19]
	s_wait_dscnt 0xc
	v_pk_add_f32 v[16:17], v[16:17], v[20:21]
	;; [unrolled: 2-line block ×4, first 2 shown]
	ds_bpermute_b32 v20, v37, v16
	s_wait_dscnt 0x7
	v_pk_add_f32 v[14:15], v[14:15], v[26:27]
	ds_bpermute_b32 v21, v37, v17
	s_wait_dscnt 0x6
	v_pk_add_f32 v[6:7], v[6:7], v[28:29]
	;; [unrolled: 3-line block ×4, first 2 shown]
	ds_bpermute_b32 v4, v37, v8
	ds_bpermute_b32 v5, v37, v9
	;; [unrolled: 1-line block ×12, first 2 shown]
	v_xor_b32_e32 v26, 1, v38
	s_delay_alu instid0(VALU_DEP_1)
	v_cmp_gt_i32_e32 vcc_lo, 32, v26
	s_wait_dscnt 0xa
	v_pk_add_f32 v[28:29], v[8:9], v[4:5]
	v_cndmask_b32_e32 v38, v38, v26, vcc_lo
	v_pk_add_f32 v[26:27], v[16:17], v[20:21]
	v_pk_add_f32 v[16:17], v[10:11], v[22:23]
	s_wait_dscnt 0x8
	v_pk_add_f32 v[10:11], v[12:13], v[24:25]
	s_wait_dscnt 0x6
	;; [unrolled: 2-line block ×4, first 2 shown]
	v_pk_add_f32 v[4:5], v[2:3], v[40:41]
	v_dual_lshlrev_b32 v38, 2, v38 :: v_dual_bitop2_b32 v40, 31, v0 bitop3:0x40
	s_wait_dscnt 0x0
	v_pk_add_f32 v[2:3], v[18:19], v[42:43]
	ds_bpermute_b32 v32, v38, v28
	ds_bpermute_b32 v33, v38, v29
	;; [unrolled: 1-line block ×16, first 2 shown]
	v_cmpx_gt_u32_e32 16, v40
	s_cbranch_execz .LBB7_4
; %bb.3:
	s_wait_dscnt 0xe
	v_pk_add_f32 v[28:29], v[28:29], v[32:33]
	v_cmp_eq_u32_e32 vcc_lo, 1, v40
	s_wait_dscnt 0xc
	v_pk_add_f32 v[26:27], v[26:27], v[30:31]
	s_wait_dscnt 0x8
	v_pk_add_f32 v[10:11], v[10:11], v[22:23]
	v_pk_add_f32 v[16:17], v[16:17], v[24:25]
	s_wait_dscnt 0x4
	v_pk_add_f32 v[6:7], v[6:7], v[18:19]
	v_cndmask_b32_e32 v28, v28, v29, vcc_lo
	v_cmp_eq_u32_e32 vcc_lo, 2, v40
	v_pk_add_f32 v[8:9], v[8:9], v[20:21]
	s_wait_dscnt 0x2
	v_pk_add_f32 v[4:5], v[4:5], v[14:15]
	s_wait_dscnt 0x0
	v_pk_add_f32 v[2:3], v[2:3], v[12:13]
	v_cndmask_b32_e32 v26, v28, v26, vcc_lo
	v_cmp_eq_u32_e32 vcc_lo, 3, v40
	s_delay_alu instid0(VALU_DEP_2) | instskip(SKIP_1) | instid1(VALU_DEP_2)
	v_cndmask_b32_e32 v24, v26, v27, vcc_lo
	v_cmp_eq_u32_e32 vcc_lo, 4, v40
	v_cndmask_b32_e32 v16, v24, v16, vcc_lo
	v_cmp_eq_u32_e32 vcc_lo, 5, v40
	s_delay_alu instid0(VALU_DEP_2) | instskip(SKIP_1) | instid1(VALU_DEP_2)
	v_cndmask_b32_e32 v16, v16, v17, vcc_lo
	v_cmp_eq_u32_e32 vcc_lo, 6, v40
	;; [unrolled: 5-line block ×6, first 2 shown]
	v_dual_cndmask_b32 v2, v4, v2 :: v_dual_lshlrev_b32 v5, 2, v39
	v_cmp_eq_u32_e32 vcc_lo, 15, v40
	s_delay_alu instid0(VALU_DEP_2) | instskip(NEXT) | instid1(VALU_DEP_3)
	v_lshl_or_b32 v4, v40, 7, v5
	v_cndmask_b32_e32 v2, v2, v3, vcc_lo
	ds_store_b32 v4, v2
.LBB7_4:
	s_or_b32 exec_lo, exec_lo, s2
	s_wait_dscnt 0x0
	s_barrier_signal -1
	s_barrier_wait -1
	s_mov_b32 s2, exec_lo
	v_cmpx_gt_u32_e32 0x100, v0
	s_cbranch_execz .LBB7_9
; %bb.5:
	s_load_b32 s0, s[0:1], 0x2c
	v_dual_mov_b32 v0, 0 :: v_dual_bitop2_b32 v2, 15, v0 bitop3:0x40
	s_wait_kmcnt 0x0
	s_and_b32 s0, 0xffff, s0
	s_delay_alu instid0(SALU_CYCLE_1)
	s_lshr_b32 s0, s0, 5
	s_delay_alu instid0(VALU_DEP_1) | instid1(SALU_CYCLE_1)
	v_cmp_gt_u32_e32 vcc_lo, s0, v2
	s_and_saveexec_b32 s0, vcc_lo
; %bb.6:
	v_lshlrev_b32_e32 v0, 2, v2
	s_delay_alu instid0(VALU_DEP_1)
	v_and_or_b32 v0, 0x1f80, v1, v0
	ds_load_b32 v0, v0
; %bb.7:
	s_or_b32 exec_lo, exec_lo, s0
	s_wait_dscnt 0x0
	ds_bpermute_b32 v1, v35, v0
	v_cmp_eq_u32_e32 vcc_lo, 0, v40
	s_wait_dscnt 0x0
	v_add_f32_e32 v0, v0, v1
	ds_bpermute_b32 v1, v36, v0
	s_wait_dscnt 0x0
	v_add_f32_e32 v0, v0, v1
	ds_bpermute_b32 v1, v37, v0
	s_wait_dscnt 0x0
	v_add_f32_e32 v0, v0, v1
	ds_bpermute_b32 v1, v38, v0
	s_wait_dscnt 0x0
	v_add_f32_e32 v0, v0, v1
	ds_bpermute_b32 v1, v34, v0
	s_and_b32 exec_lo, exec_lo, vcc_lo
	s_cbranch_execz .LBB7_9
; %bb.8:
	s_lshl_b32 s0, s11, 3
	s_wait_dscnt 0x0
	v_cvt_pk_bf16_f32 v0, v0, v1
	v_and_or_b32 v2, 0x7ffffff8, s0, v39
	global_store_b32 v2, v0, s[8:9] scale_offset
.LBB7_9:
	s_sendmsg sendmsg(MSG_DEALLOC_VGPRS)
	s_endpgm
	.section	.rodata,"a",@progbits
	.p2align	6, 0x0
	.amdhsa_kernel _Z14LLGemm1_kernelIN3c108BFloat16ELi16EEvPKT_S4_PS2_i
		.amdhsa_group_segment_fixed_size 2048
		.amdhsa_private_segment_fixed_size 0
		.amdhsa_kernarg_size 288
		.amdhsa_user_sgpr_count 2
		.amdhsa_user_sgpr_dispatch_ptr 0
		.amdhsa_user_sgpr_queue_ptr 0
		.amdhsa_user_sgpr_kernarg_segment_ptr 1
		.amdhsa_user_sgpr_dispatch_id 0
		.amdhsa_user_sgpr_kernarg_preload_length 0
		.amdhsa_user_sgpr_kernarg_preload_offset 0
		.amdhsa_user_sgpr_private_segment_size 0
		.amdhsa_wavefront_size32 1
		.amdhsa_uses_dynamic_stack 0
		.amdhsa_enable_private_segment 0
		.amdhsa_system_sgpr_workgroup_id_x 1
		.amdhsa_system_sgpr_workgroup_id_y 0
		.amdhsa_system_sgpr_workgroup_id_z 0
		.amdhsa_system_sgpr_workgroup_info 0
		.amdhsa_system_vgpr_workitem_id 0
		.amdhsa_next_free_vgpr 81
		.amdhsa_next_free_sgpr 13
		.amdhsa_named_barrier_count 0
		.amdhsa_reserve_vcc 1
		.amdhsa_float_round_mode_32 0
		.amdhsa_float_round_mode_16_64 0
		.amdhsa_float_denorm_mode_32 3
		.amdhsa_float_denorm_mode_16_64 3
		.amdhsa_fp16_overflow 0
		.amdhsa_memory_ordered 1
		.amdhsa_forward_progress 1
		.amdhsa_inst_pref_size 26
		.amdhsa_round_robin_scheduling 0
		.amdhsa_exception_fp_ieee_invalid_op 0
		.amdhsa_exception_fp_denorm_src 0
		.amdhsa_exception_fp_ieee_div_zero 0
		.amdhsa_exception_fp_ieee_overflow 0
		.amdhsa_exception_fp_ieee_underflow 0
		.amdhsa_exception_fp_ieee_inexact 0
		.amdhsa_exception_int_div_zero 0
	.end_amdhsa_kernel
	.section	.text._Z14LLGemm1_kernelIN3c108BFloat16ELi16EEvPKT_S4_PS2_i,"axG",@progbits,_Z14LLGemm1_kernelIN3c108BFloat16ELi16EEvPKT_S4_PS2_i,comdat
.Lfunc_end7:
	.size	_Z14LLGemm1_kernelIN3c108BFloat16ELi16EEvPKT_S4_PS2_i, .Lfunc_end7-_Z14LLGemm1_kernelIN3c108BFloat16ELi16EEvPKT_S4_PS2_i
                                        ; -- End function
	.set _Z14LLGemm1_kernelIN3c108BFloat16ELi16EEvPKT_S4_PS2_i.num_vgpr, 81
	.set _Z14LLGemm1_kernelIN3c108BFloat16ELi16EEvPKT_S4_PS2_i.num_agpr, 0
	.set _Z14LLGemm1_kernelIN3c108BFloat16ELi16EEvPKT_S4_PS2_i.numbered_sgpr, 13
	.set _Z14LLGemm1_kernelIN3c108BFloat16ELi16EEvPKT_S4_PS2_i.num_named_barrier, 0
	.set _Z14LLGemm1_kernelIN3c108BFloat16ELi16EEvPKT_S4_PS2_i.private_seg_size, 0
	.set _Z14LLGemm1_kernelIN3c108BFloat16ELi16EEvPKT_S4_PS2_i.uses_vcc, 1
	.set _Z14LLGemm1_kernelIN3c108BFloat16ELi16EEvPKT_S4_PS2_i.uses_flat_scratch, 0
	.set _Z14LLGemm1_kernelIN3c108BFloat16ELi16EEvPKT_S4_PS2_i.has_dyn_sized_stack, 0
	.set _Z14LLGemm1_kernelIN3c108BFloat16ELi16EEvPKT_S4_PS2_i.has_recursion, 0
	.set _Z14LLGemm1_kernelIN3c108BFloat16ELi16EEvPKT_S4_PS2_i.has_indirect_call, 0
	.section	.AMDGPU.csdata,"",@progbits
; Kernel info:
; codeLenInByte = 3228
; TotalNumSgprs: 15
; NumVgprs: 81
; ScratchSize: 0
; MemoryBound: 0
; FloatMode: 240
; IeeeMode: 1
; LDSByteSize: 2048 bytes/workgroup (compile time only)
; SGPRBlocks: 0
; VGPRBlocks: 5
; NumSGPRsForWavesPerEU: 15
; NumVGPRsForWavesPerEU: 81
; NamedBarCnt: 0
; Occupancy: 10
; WaveLimiterHint : 0
; COMPUTE_PGM_RSRC2:SCRATCH_EN: 0
; COMPUTE_PGM_RSRC2:USER_SGPR: 2
; COMPUTE_PGM_RSRC2:TRAP_HANDLER: 0
; COMPUTE_PGM_RSRC2:TGID_X_EN: 1
; COMPUTE_PGM_RSRC2:TGID_Y_EN: 0
; COMPUTE_PGM_RSRC2:TGID_Z_EN: 0
; COMPUTE_PGM_RSRC2:TIDIG_COMP_CNT: 0
	.text
	.p2align	2                               ; -- Begin function __ockl_fprintf_append_string_n
	.type	__ockl_fprintf_append_string_n,@function
__ockl_fprintf_append_string_n:         ; @__ockl_fprintf_append_string_n
; %bb.0:
	s_wait_loadcnt_dscnt 0x0
	s_wait_kmcnt 0x0
	v_or_b32_e32 v2, 2, v0
	v_cmp_eq_u32_e32 vcc_lo, 0, v6
	v_mbcnt_lo_u32_b32 v30, -1, 0
	s_get_pc_i64 s[0:1]
	s_add_nc_u64 s[0:1], s[0:1], .str.3@rel64+4
	s_mov_b32 s6, 0
	s_cmp_lg_u64 s[0:1], 0
	v_cndmask_b32_e32 v3, v2, v0, vcc_lo
	s_cbranch_scc0 .LBB8_113
; %bb.1:
	s_load_b64 s[2:3], s[8:9], 0x50
	s_delay_alu instid0(VALU_DEP_1) | instskip(SKIP_3) | instid1(VALU_DEP_4)
	v_dual_mov_b32 v7, 0 :: v_dual_bitop2_b32 v0, -3, v3 bitop3:0x40
	v_mov_b64_e32 v[8:9], 0x100000002
	v_mov_b64_e32 v[32:33], s[0:1]
	v_and_b32_e32 v2, 2, v3
	v_mov_b64_e32 v[10:11], v[0:1]
	s_mov_b32 s7, 0
	s_branch .LBB8_3
.LBB8_2:                                ;   in Loop: Header=BB8_3 Depth=1
	s_or_b32 exec_lo, exec_lo, s10
	v_sub_nc_u64_e32 v[4:5], v[4:5], v[34:35]
	v_add_nc_u64_e32 v[32:33], v[32:33], v[34:35]
	s_delay_alu instid0(VALU_DEP_2) | instskip(SKIP_1) | instid1(SALU_CYCLE_1)
	v_cmp_eq_u64_e32 vcc_lo, 0, v[4:5]
	s_or_b32 s7, vcc_lo, s7
	s_and_not1_b32 exec_lo, exec_lo, s7
	s_cbranch_execz .LBB8_85
.LBB8_3:                                ; =>This Loop Header: Depth=1
                                        ;     Child Loop BB8_6 Depth 2
                                        ;     Child Loop BB8_14 Depth 2
	;; [unrolled: 1-line block ×11, first 2 shown]
	v_min_u64 v[34:35], v[4:5], 56
	s_delay_alu instid0(VALU_DEP_3)
	v_add_nc_u64_e32 v[16:17], 8, v[32:33]
	s_mov_b32 s0, exec_lo
	v_cmpx_gt_u64_e32 8, v[4:5]
	s_xor_b32 s4, exec_lo, s0
	s_cbranch_execz .LBB8_9
; %bb.4:                                ;   in Loop: Header=BB8_3 Depth=1
	s_wait_loadcnt 0x0
	v_mov_b64_e32 v[12:13], 0
	s_mov_b32 s5, exec_lo
	v_cmpx_ne_u64_e32 0, v[4:5]
	s_cbranch_execz .LBB8_8
; %bb.5:                                ;   in Loop: Header=BB8_3 Depth=1
	v_mov_b64_e32 v[12:13], 0
	v_mov_b64_e32 v[14:15], v[32:33]
	v_lshlrev_b32_e32 v0, 3, v34
	s_mov_b64 s[0:1], 0
	s_mov_b32 s10, 0
.LBB8_6:                                ;   Parent Loop BB8_3 Depth=1
                                        ; =>  This Inner Loop Header: Depth=2
	global_load_u8 v6, v[14:15], off
	v_mov_b32_e32 v17, s6
	s_wait_xcnt 0x0
	v_add_nc_u64_e32 v[14:15], 1, v[14:15]
	s_wait_loadcnt 0x0
	v_and_b32_e32 v16, 0xffff, v6
	s_delay_alu instid0(VALU_DEP_1) | instskip(SKIP_1) | instid1(SALU_CYCLE_1)
	v_lshlrev_b64_e32 v[16:17], s0, v[16:17]
	s_add_nc_u64 s[0:1], s[0:1], 8
	v_cmp_eq_u32_e32 vcc_lo, s0, v0
	s_delay_alu instid0(VALU_DEP_2) | instskip(NEXT) | instid1(VALU_DEP_3)
	v_or_b32_e32 v13, v17, v13
	v_or_b32_e32 v12, v16, v12
	s_or_b32 s10, vcc_lo, s10
	s_delay_alu instid0(SALU_CYCLE_1)
	s_and_not1_b32 exec_lo, exec_lo, s10
	s_cbranch_execnz .LBB8_6
; %bb.7:                                ;   in Loop: Header=BB8_3 Depth=1
	s_or_b32 exec_lo, exec_lo, s10
.LBB8_8:                                ;   in Loop: Header=BB8_3 Depth=1
	s_delay_alu instid0(SALU_CYCLE_1)
	s_or_b32 exec_lo, exec_lo, s5
	v_mov_b64_e32 v[16:17], v[32:33]
.LBB8_9:                                ;   in Loop: Header=BB8_3 Depth=1
	s_or_saveexec_b32 s0, s4
	v_mov_b32_e32 v0, 0
	s_xor_b32 exec_lo, exec_lo, s0
	s_cbranch_execz .LBB8_11
; %bb.10:                               ;   in Loop: Header=BB8_3 Depth=1
	s_wait_loadcnt 0x0
	global_load_b64 v[12:13], v[32:33], off
	v_add_nc_u32_e32 v0, -8, v34
.LBB8_11:                               ;   in Loop: Header=BB8_3 Depth=1
	s_wait_xcnt 0x0
	s_or_b32 exec_lo, exec_lo, s0
	v_add_nc_u64_e32 v[18:19], 8, v[16:17]
                                        ; implicit-def: $vgpr14_vgpr15
	s_mov_b32 s0, exec_lo
	v_cmpx_gt_u32_e32 8, v0
	s_xor_b32 s10, exec_lo, s0
	s_cbranch_execz .LBB8_17
; %bb.12:                               ;   in Loop: Header=BB8_3 Depth=1
	v_mov_b64_e32 v[14:15], 0
	s_mov_b32 s11, exec_lo
	v_cmpx_ne_u32_e32 0, v0
	s_cbranch_execz .LBB8_16
; %bb.13:                               ;   in Loop: Header=BB8_3 Depth=1
	v_mov_b64_e32 v[14:15], 0
	s_mov_b64 s[0:1], 0
	s_mov_b32 s12, 0
	s_mov_b64 s[4:5], 0
.LBB8_14:                               ;   Parent Loop BB8_3 Depth=1
                                        ; =>  This Inner Loop Header: Depth=2
	s_delay_alu instid0(SALU_CYCLE_1) | instskip(SKIP_1) | instid1(SALU_CYCLE_1)
	v_add_nc_u64_e32 v[18:19], s[4:5], v[16:17]
	s_add_nc_u64 s[4:5], s[4:5], 1
	v_cmp_eq_u32_e32 vcc_lo, s4, v0
	global_load_u8 v6, v[18:19], off
	s_wait_xcnt 0x0
	v_mov_b32_e32 v19, s6
	s_or_b32 s12, vcc_lo, s12
	s_wait_loadcnt 0x0
	v_and_b32_e32 v18, 0xffff, v6
	s_delay_alu instid0(VALU_DEP_1) | instskip(SKIP_1) | instid1(VALU_DEP_1)
	v_lshlrev_b64_e32 v[18:19], s0, v[18:19]
	s_add_nc_u64 s[0:1], s[0:1], 8
	v_or_b32_e32 v15, v19, v15
	s_delay_alu instid0(VALU_DEP_2)
	v_or_b32_e32 v14, v18, v14
	s_and_not1_b32 exec_lo, exec_lo, s12
	s_cbranch_execnz .LBB8_14
; %bb.15:                               ;   in Loop: Header=BB8_3 Depth=1
	s_or_b32 exec_lo, exec_lo, s12
.LBB8_16:                               ;   in Loop: Header=BB8_3 Depth=1
	s_delay_alu instid0(SALU_CYCLE_1)
	s_or_b32 exec_lo, exec_lo, s11
	v_mov_b64_e32 v[18:19], v[16:17]
                                        ; implicit-def: $vgpr0
.LBB8_17:                               ;   in Loop: Header=BB8_3 Depth=1
	s_or_saveexec_b32 s0, s10
	v_mov_b32_e32 v6, 0
	s_xor_b32 exec_lo, exec_lo, s0
	s_cbranch_execz .LBB8_19
; %bb.18:                               ;   in Loop: Header=BB8_3 Depth=1
	global_load_b64 v[14:15], v[16:17], off
	v_add_nc_u32_e32 v6, -8, v0
.LBB8_19:                               ;   in Loop: Header=BB8_3 Depth=1
	s_wait_xcnt 0x0
	s_or_b32 exec_lo, exec_lo, s0
	v_add_nc_u64_e32 v[20:21], 8, v[18:19]
	s_mov_b32 s0, exec_lo
	v_cmpx_gt_u32_e32 8, v6
	s_xor_b32 s10, exec_lo, s0
	s_cbranch_execz .LBB8_25
; %bb.20:                               ;   in Loop: Header=BB8_3 Depth=1
	v_mov_b64_e32 v[16:17], 0
	s_mov_b32 s11, exec_lo
	v_cmpx_ne_u32_e32 0, v6
	s_cbranch_execz .LBB8_24
; %bb.21:                               ;   in Loop: Header=BB8_3 Depth=1
	v_mov_b64_e32 v[16:17], 0
	s_mov_b64 s[0:1], 0
	s_mov_b32 s12, 0
	s_mov_b64 s[4:5], 0
.LBB8_22:                               ;   Parent Loop BB8_3 Depth=1
                                        ; =>  This Inner Loop Header: Depth=2
	s_delay_alu instid0(SALU_CYCLE_1) | instskip(SKIP_1) | instid1(SALU_CYCLE_1)
	v_add_nc_u64_e32 v[20:21], s[4:5], v[18:19]
	s_add_nc_u64 s[4:5], s[4:5], 1
	v_cmp_eq_u32_e32 vcc_lo, s4, v6
	global_load_u8 v0, v[20:21], off
	s_wait_xcnt 0x0
	v_mov_b32_e32 v21, s6
	s_or_b32 s12, vcc_lo, s12
	s_wait_loadcnt 0x0
	v_and_b32_e32 v20, 0xffff, v0
	s_delay_alu instid0(VALU_DEP_1) | instskip(SKIP_1) | instid1(VALU_DEP_1)
	v_lshlrev_b64_e32 v[20:21], s0, v[20:21]
	s_add_nc_u64 s[0:1], s[0:1], 8
	v_or_b32_e32 v17, v21, v17
	s_delay_alu instid0(VALU_DEP_2)
	v_or_b32_e32 v16, v20, v16
	s_and_not1_b32 exec_lo, exec_lo, s12
	s_cbranch_execnz .LBB8_22
; %bb.23:                               ;   in Loop: Header=BB8_3 Depth=1
	s_or_b32 exec_lo, exec_lo, s12
.LBB8_24:                               ;   in Loop: Header=BB8_3 Depth=1
	s_delay_alu instid0(SALU_CYCLE_1)
	s_or_b32 exec_lo, exec_lo, s11
	v_mov_b64_e32 v[20:21], v[18:19]
                                        ; implicit-def: $vgpr6
.LBB8_25:                               ;   in Loop: Header=BB8_3 Depth=1
	s_or_saveexec_b32 s0, s10
	v_mov_b32_e32 v0, 0
	s_xor_b32 exec_lo, exec_lo, s0
	s_cbranch_execz .LBB8_27
; %bb.26:                               ;   in Loop: Header=BB8_3 Depth=1
	global_load_b64 v[16:17], v[18:19], off
	v_add_nc_u32_e32 v0, -8, v6
.LBB8_27:                               ;   in Loop: Header=BB8_3 Depth=1
	s_wait_xcnt 0x0
	s_or_b32 exec_lo, exec_lo, s0
	v_add_nc_u64_e32 v[22:23], 8, v[20:21]
                                        ; implicit-def: $vgpr18_vgpr19
	s_mov_b32 s0, exec_lo
	v_cmpx_gt_u32_e32 8, v0
	s_xor_b32 s10, exec_lo, s0
	s_cbranch_execz .LBB8_33
; %bb.28:                               ;   in Loop: Header=BB8_3 Depth=1
	v_mov_b64_e32 v[18:19], 0
	s_mov_b32 s11, exec_lo
	v_cmpx_ne_u32_e32 0, v0
	s_cbranch_execz .LBB8_32
; %bb.29:                               ;   in Loop: Header=BB8_3 Depth=1
	v_mov_b64_e32 v[18:19], 0
	s_mov_b64 s[0:1], 0
	s_mov_b32 s12, 0
	s_mov_b64 s[4:5], 0
.LBB8_30:                               ;   Parent Loop BB8_3 Depth=1
                                        ; =>  This Inner Loop Header: Depth=2
	s_delay_alu instid0(SALU_CYCLE_1) | instskip(SKIP_1) | instid1(SALU_CYCLE_1)
	v_add_nc_u64_e32 v[22:23], s[4:5], v[20:21]
	s_add_nc_u64 s[4:5], s[4:5], 1
	v_cmp_eq_u32_e32 vcc_lo, s4, v0
	global_load_u8 v6, v[22:23], off
	s_wait_xcnt 0x0
	v_mov_b32_e32 v23, s6
	s_or_b32 s12, vcc_lo, s12
	s_wait_loadcnt 0x0
	v_and_b32_e32 v22, 0xffff, v6
	s_delay_alu instid0(VALU_DEP_1) | instskip(SKIP_1) | instid1(VALU_DEP_1)
	v_lshlrev_b64_e32 v[22:23], s0, v[22:23]
	s_add_nc_u64 s[0:1], s[0:1], 8
	v_or_b32_e32 v19, v23, v19
	s_delay_alu instid0(VALU_DEP_2)
	v_or_b32_e32 v18, v22, v18
	s_and_not1_b32 exec_lo, exec_lo, s12
	s_cbranch_execnz .LBB8_30
; %bb.31:                               ;   in Loop: Header=BB8_3 Depth=1
	s_or_b32 exec_lo, exec_lo, s12
.LBB8_32:                               ;   in Loop: Header=BB8_3 Depth=1
	s_delay_alu instid0(SALU_CYCLE_1)
	s_or_b32 exec_lo, exec_lo, s11
	v_mov_b64_e32 v[22:23], v[20:21]
                                        ; implicit-def: $vgpr0
.LBB8_33:                               ;   in Loop: Header=BB8_3 Depth=1
	s_or_saveexec_b32 s0, s10
	v_mov_b32_e32 v6, 0
	s_xor_b32 exec_lo, exec_lo, s0
	s_cbranch_execz .LBB8_35
; %bb.34:                               ;   in Loop: Header=BB8_3 Depth=1
	global_load_b64 v[18:19], v[20:21], off
	v_add_nc_u32_e32 v6, -8, v0
.LBB8_35:                               ;   in Loop: Header=BB8_3 Depth=1
	s_wait_xcnt 0x0
	s_or_b32 exec_lo, exec_lo, s0
	v_add_nc_u64_e32 v[24:25], 8, v[22:23]
	s_mov_b32 s0, exec_lo
	v_cmpx_gt_u32_e32 8, v6
	s_xor_b32 s10, exec_lo, s0
	s_cbranch_execz .LBB8_41
; %bb.36:                               ;   in Loop: Header=BB8_3 Depth=1
	v_mov_b64_e32 v[20:21], 0
	s_mov_b32 s11, exec_lo
	v_cmpx_ne_u32_e32 0, v6
	s_cbranch_execz .LBB8_40
; %bb.37:                               ;   in Loop: Header=BB8_3 Depth=1
	v_mov_b64_e32 v[20:21], 0
	s_mov_b64 s[0:1], 0
	s_mov_b32 s12, 0
	s_mov_b64 s[4:5], 0
.LBB8_38:                               ;   Parent Loop BB8_3 Depth=1
                                        ; =>  This Inner Loop Header: Depth=2
	s_delay_alu instid0(SALU_CYCLE_1) | instskip(SKIP_1) | instid1(SALU_CYCLE_1)
	v_add_nc_u64_e32 v[24:25], s[4:5], v[22:23]
	s_add_nc_u64 s[4:5], s[4:5], 1
	v_cmp_eq_u32_e32 vcc_lo, s4, v6
	global_load_u8 v0, v[24:25], off
	s_wait_xcnt 0x0
	v_mov_b32_e32 v25, s6
	s_or_b32 s12, vcc_lo, s12
	s_wait_loadcnt 0x0
	v_and_b32_e32 v24, 0xffff, v0
	s_delay_alu instid0(VALU_DEP_1) | instskip(SKIP_1) | instid1(VALU_DEP_1)
	v_lshlrev_b64_e32 v[24:25], s0, v[24:25]
	s_add_nc_u64 s[0:1], s[0:1], 8
	v_or_b32_e32 v21, v25, v21
	s_delay_alu instid0(VALU_DEP_2)
	v_or_b32_e32 v20, v24, v20
	s_and_not1_b32 exec_lo, exec_lo, s12
	s_cbranch_execnz .LBB8_38
; %bb.39:                               ;   in Loop: Header=BB8_3 Depth=1
	s_or_b32 exec_lo, exec_lo, s12
.LBB8_40:                               ;   in Loop: Header=BB8_3 Depth=1
	s_delay_alu instid0(SALU_CYCLE_1)
	s_or_b32 exec_lo, exec_lo, s11
	v_mov_b64_e32 v[24:25], v[22:23]
                                        ; implicit-def: $vgpr6
.LBB8_41:                               ;   in Loop: Header=BB8_3 Depth=1
	s_or_saveexec_b32 s0, s10
	v_mov_b32_e32 v0, 0
	s_xor_b32 exec_lo, exec_lo, s0
	s_cbranch_execz .LBB8_43
; %bb.42:                               ;   in Loop: Header=BB8_3 Depth=1
	global_load_b64 v[20:21], v[22:23], off
	v_add_nc_u32_e32 v0, -8, v6
.LBB8_43:                               ;   in Loop: Header=BB8_3 Depth=1
	s_wait_xcnt 0x0
	s_or_b32 exec_lo, exec_lo, s0
	v_add_nc_u64_e32 v[26:27], 8, v[24:25]
                                        ; implicit-def: $vgpr22_vgpr23
	s_mov_b32 s0, exec_lo
	v_cmpx_gt_u32_e32 8, v0
	s_xor_b32 s10, exec_lo, s0
	s_cbranch_execz .LBB8_49
; %bb.44:                               ;   in Loop: Header=BB8_3 Depth=1
	v_mov_b64_e32 v[22:23], 0
	s_mov_b32 s11, exec_lo
	v_cmpx_ne_u32_e32 0, v0
	s_cbranch_execz .LBB8_48
; %bb.45:                               ;   in Loop: Header=BB8_3 Depth=1
	v_mov_b64_e32 v[22:23], 0
	s_mov_b64 s[0:1], 0
	s_mov_b32 s12, 0
	s_mov_b64 s[4:5], 0
.LBB8_46:                               ;   Parent Loop BB8_3 Depth=1
                                        ; =>  This Inner Loop Header: Depth=2
	s_delay_alu instid0(SALU_CYCLE_1) | instskip(SKIP_1) | instid1(SALU_CYCLE_1)
	v_add_nc_u64_e32 v[26:27], s[4:5], v[24:25]
	s_add_nc_u64 s[4:5], s[4:5], 1
	v_cmp_eq_u32_e32 vcc_lo, s4, v0
	global_load_u8 v6, v[26:27], off
	s_wait_xcnt 0x0
	v_mov_b32_e32 v27, s6
	s_or_b32 s12, vcc_lo, s12
	s_wait_loadcnt 0x0
	v_and_b32_e32 v26, 0xffff, v6
	s_delay_alu instid0(VALU_DEP_1) | instskip(SKIP_1) | instid1(VALU_DEP_1)
	v_lshlrev_b64_e32 v[26:27], s0, v[26:27]
	s_add_nc_u64 s[0:1], s[0:1], 8
	v_or_b32_e32 v23, v27, v23
	s_delay_alu instid0(VALU_DEP_2)
	v_or_b32_e32 v22, v26, v22
	s_and_not1_b32 exec_lo, exec_lo, s12
	s_cbranch_execnz .LBB8_46
; %bb.47:                               ;   in Loop: Header=BB8_3 Depth=1
	s_or_b32 exec_lo, exec_lo, s12
.LBB8_48:                               ;   in Loop: Header=BB8_3 Depth=1
	s_delay_alu instid0(SALU_CYCLE_1)
	s_or_b32 exec_lo, exec_lo, s11
	v_mov_b64_e32 v[26:27], v[24:25]
                                        ; implicit-def: $vgpr0
.LBB8_49:                               ;   in Loop: Header=BB8_3 Depth=1
	s_or_saveexec_b32 s0, s10
	v_mov_b32_e32 v6, 0
	s_xor_b32 exec_lo, exec_lo, s0
	s_cbranch_execz .LBB8_51
; %bb.50:                               ;   in Loop: Header=BB8_3 Depth=1
	global_load_b64 v[22:23], v[24:25], off
	v_add_nc_u32_e32 v6, -8, v0
.LBB8_51:                               ;   in Loop: Header=BB8_3 Depth=1
	s_wait_xcnt 0x0
	s_or_b32 exec_lo, exec_lo, s0
	s_delay_alu instid0(SALU_CYCLE_1) | instskip(NEXT) | instid1(VALU_DEP_1)
	s_mov_b32 s0, exec_lo
	v_cmpx_gt_u32_e32 8, v6
	s_xor_b32 s4, exec_lo, s0
	s_cbranch_execz .LBB8_57
; %bb.52:                               ;   in Loop: Header=BB8_3 Depth=1
	v_mov_b64_e32 v[24:25], 0
	s_mov_b32 s5, exec_lo
	v_cmpx_ne_u32_e32 0, v6
	s_cbranch_execz .LBB8_56
; %bb.53:                               ;   in Loop: Header=BB8_3 Depth=1
	v_mov_b64_e32 v[24:25], 0
	s_mov_b64 s[0:1], 0
	s_mov_b32 s10, 0
.LBB8_54:                               ;   Parent Loop BB8_3 Depth=1
                                        ; =>  This Inner Loop Header: Depth=2
	global_load_u8 v0, v[26:27], off
	v_dual_mov_b32 v29, s6 :: v_dual_add_nc_u32 v6, -1, v6
	s_wait_xcnt 0x0
	v_add_nc_u64_e32 v[26:27], 1, v[26:27]
	s_delay_alu instid0(VALU_DEP_2) | instskip(SKIP_3) | instid1(VALU_DEP_1)
	v_cmp_eq_u32_e32 vcc_lo, 0, v6
	s_or_b32 s10, vcc_lo, s10
	s_wait_loadcnt 0x0
	v_and_b32_e32 v28, 0xffff, v0
	v_lshlrev_b64_e32 v[28:29], s0, v[28:29]
	s_add_nc_u64 s[0:1], s[0:1], 8
	s_delay_alu instid0(VALU_DEP_1) | instskip(NEXT) | instid1(VALU_DEP_2)
	v_or_b32_e32 v25, v29, v25
	v_or_b32_e32 v24, v28, v24
	s_and_not1_b32 exec_lo, exec_lo, s10
	s_cbranch_execnz .LBB8_54
; %bb.55:                               ;   in Loop: Header=BB8_3 Depth=1
	s_or_b32 exec_lo, exec_lo, s10
.LBB8_56:                               ;   in Loop: Header=BB8_3 Depth=1
	s_delay_alu instid0(SALU_CYCLE_1)
	s_or_b32 exec_lo, exec_lo, s5
                                        ; implicit-def: $vgpr26_vgpr27
.LBB8_57:                               ;   in Loop: Header=BB8_3 Depth=1
	s_and_not1_saveexec_b32 s0, s4
	s_cbranch_execz .LBB8_59
; %bb.58:                               ;   in Loop: Header=BB8_3 Depth=1
	global_load_b64 v[24:25], v[26:27], off
.LBB8_59:                               ;   in Loop: Header=BB8_3 Depth=1
	s_wait_xcnt 0x0
	s_or_b32 exec_lo, exec_lo, s0
	v_readfirstlane_b32 s0, v30
	v_mov_b64_e32 v[36:37], 0
	s_delay_alu instid0(VALU_DEP_2)
	v_cmp_eq_u32_e64 s0, s0, v30
	s_and_saveexec_b32 s1, s0
	s_cbranch_execz .LBB8_65
; %bb.60:                               ;   in Loop: Header=BB8_3 Depth=1
	s_wait_kmcnt 0x0
	global_load_b64 v[28:29], v7, s[2:3] offset:24 scope:SCOPE_SYS
	s_wait_loadcnt 0x0
	global_inv scope:SCOPE_SYS
	s_clause 0x1
	global_load_b64 v[26:27], v7, s[2:3] offset:40
	global_load_b64 v[36:37], v7, s[2:3]
	s_mov_b32 s4, exec_lo
	s_wait_loadcnt 0x1
	v_and_b32_e32 v26, v26, v28
	v_and_b32_e32 v27, v27, v29
	s_delay_alu instid0(VALU_DEP_1) | instskip(SKIP_1) | instid1(VALU_DEP_1)
	v_mul_u64_e32 v[26:27], 24, v[26:27]
	s_wait_loadcnt 0x0
	v_add_nc_u64_e32 v[26:27], v[36:37], v[26:27]
	global_load_b64 v[26:27], v[26:27], off scope:SCOPE_SYS
	s_wait_xcnt 0x0
	s_wait_loadcnt 0x0
	global_atomic_cmpswap_b64 v[36:37], v7, v[26:29], s[2:3] offset:24 th:TH_ATOMIC_RETURN scope:SCOPE_SYS
	s_wait_loadcnt 0x0
	global_inv scope:SCOPE_SYS
	s_wait_xcnt 0x0
	v_cmpx_ne_u64_e64 v[36:37], v[28:29]
	s_cbranch_execz .LBB8_64
; %bb.61:                               ;   in Loop: Header=BB8_3 Depth=1
	s_mov_b32 s5, 0
.LBB8_62:                               ;   Parent Loop BB8_3 Depth=1
                                        ; =>  This Inner Loop Header: Depth=2
	s_sleep 1
	s_clause 0x1
	global_load_b64 v[26:27], v7, s[2:3] offset:40
	global_load_b64 v[38:39], v7, s[2:3]
	v_mov_b64_e32 v[28:29], v[36:37]
	s_wait_loadcnt 0x1
	s_delay_alu instid0(VALU_DEP_1) | instskip(SKIP_1) | instid1(VALU_DEP_1)
	v_and_b32_e32 v0, v26, v28
	s_wait_loadcnt 0x0
	v_mad_nc_u64_u32 v[36:37], v0, 24, v[38:39]
	s_delay_alu instid0(VALU_DEP_3) | instskip(NEXT) | instid1(VALU_DEP_1)
	v_and_b32_e32 v0, v27, v29
	v_mad_u32 v37, v0, 24, v37
	global_load_b64 v[26:27], v[36:37], off scope:SCOPE_SYS
	s_wait_xcnt 0x0
	s_wait_loadcnt 0x0
	global_atomic_cmpswap_b64 v[36:37], v7, v[26:29], s[2:3] offset:24 th:TH_ATOMIC_RETURN scope:SCOPE_SYS
	s_wait_loadcnt 0x0
	global_inv scope:SCOPE_SYS
	v_cmp_eq_u64_e32 vcc_lo, v[36:37], v[28:29]
	s_or_b32 s5, vcc_lo, s5
	s_wait_xcnt 0x0
	s_and_not1_b32 exec_lo, exec_lo, s5
	s_cbranch_execnz .LBB8_62
; %bb.63:                               ;   in Loop: Header=BB8_3 Depth=1
	s_or_b32 exec_lo, exec_lo, s5
.LBB8_64:                               ;   in Loop: Header=BB8_3 Depth=1
	s_delay_alu instid0(SALU_CYCLE_1)
	s_or_b32 exec_lo, exec_lo, s4
.LBB8_65:                               ;   in Loop: Header=BB8_3 Depth=1
	s_delay_alu instid0(SALU_CYCLE_1)
	s_or_b32 exec_lo, exec_lo, s1
	s_wait_kmcnt 0x0
	s_clause 0x1
	global_load_b64 v[38:39], v7, s[2:3] offset:40
	global_load_b128 v[26:29], v7, s[2:3]
	v_readfirstlane_b32 s4, v36
	v_readfirstlane_b32 s5, v37
	s_mov_b32 s1, exec_lo
	s_wait_loadcnt 0x1
	v_and_b32_e32 v38, s4, v38
	v_and_b32_e32 v39, s5, v39
	s_delay_alu instid0(VALU_DEP_1) | instskip(SKIP_1) | instid1(VALU_DEP_1)
	v_mul_u64_e32 v[36:37], 24, v[38:39]
	s_wait_loadcnt 0x0
	v_add_nc_u64_e32 v[36:37], v[26:27], v[36:37]
	s_wait_xcnt 0x0
	s_and_saveexec_b32 s10, s0
	s_cbranch_execz .LBB8_67
; %bb.66:                               ;   in Loop: Header=BB8_3 Depth=1
	v_mov_b32_e32 v6, s1
	global_store_b128 v[36:37], v[6:9], off offset:8
.LBB8_67:                               ;   in Loop: Header=BB8_3 Depth=1
	s_wait_xcnt 0x0
	s_or_b32 exec_lo, exec_lo, s10
	v_cmp_gt_u64_e32 vcc_lo, 57, v[4:5]
	v_lshlrev_b64_e32 v[38:39], 12, v[38:39]
	v_and_b32_e32 v6, 0xffffff1f, v10
	v_lshl_add_u32 v10, v34, 2, 28
	v_cndmask_b32_e32 v0, 0, v2, vcc_lo
	s_delay_alu instid0(VALU_DEP_4) | instskip(NEXT) | instid1(VALU_DEP_2)
	v_add_nc_u64_e32 v[28:29], v[28:29], v[38:39]
	v_dual_lshlrev_b32 v6, 6, v30 :: v_dual_bitop2_b32 v0, v6, v0 bitop3:0x54
	s_delay_alu instid0(VALU_DEP_2) | instskip(NEXT) | instid1(VALU_DEP_3)
	v_readfirstlane_b32 s10, v28
	v_readfirstlane_b32 s11, v29
	s_delay_alu instid0(VALU_DEP_3)
	v_and_or_b32 v10, 0x1e0, v10, v0
	s_clause 0x3
	global_store_b128 v6, v[10:13], s[10:11]
	global_store_b128 v6, v[14:17], s[10:11] offset:16
	global_store_b128 v6, v[18:21], s[10:11] offset:32
	;; [unrolled: 1-line block ×3, first 2 shown]
	s_wait_xcnt 0x0
	s_and_saveexec_b32 s1, s0
	s_cbranch_execz .LBB8_75
; %bb.68:                               ;   in Loop: Header=BB8_3 Depth=1
	s_clause 0x1
	global_load_b64 v[18:19], v7, s[2:3] offset:32 scope:SCOPE_SYS
	global_load_b64 v[10:11], v7, s[2:3] offset:40
	s_mov_b32 s10, exec_lo
	v_dual_mov_b32 v16, s4 :: v_dual_mov_b32 v17, s5
	s_wait_loadcnt 0x0
	v_and_b32_e32 v11, s5, v11
	v_and_b32_e32 v10, s4, v10
	s_delay_alu instid0(VALU_DEP_1) | instskip(NEXT) | instid1(VALU_DEP_1)
	v_mul_u64_e32 v[10:11], 24, v[10:11]
	v_add_nc_u64_e32 v[14:15], v[26:27], v[10:11]
	global_store_b64 v[14:15], v[18:19], off
	global_wb scope:SCOPE_SYS
	s_wait_storecnt 0x0
	s_wait_xcnt 0x0
	global_atomic_cmpswap_b64 v[12:13], v7, v[16:19], s[2:3] offset:32 th:TH_ATOMIC_RETURN scope:SCOPE_SYS
	s_wait_loadcnt 0x0
	v_cmpx_ne_u64_e64 v[12:13], v[18:19]
	s_cbranch_execz .LBB8_71
; %bb.69:                               ;   in Loop: Header=BB8_3 Depth=1
	s_mov_b32 s11, 0
.LBB8_70:                               ;   Parent Loop BB8_3 Depth=1
                                        ; =>  This Inner Loop Header: Depth=2
	v_dual_mov_b32 v10, s4 :: v_dual_mov_b32 v11, s5
	s_sleep 1
	global_store_b64 v[14:15], v[12:13], off
	global_wb scope:SCOPE_SYS
	s_wait_storecnt 0x0
	s_wait_xcnt 0x0
	global_atomic_cmpswap_b64 v[10:11], v7, v[10:13], s[2:3] offset:32 th:TH_ATOMIC_RETURN scope:SCOPE_SYS
	s_wait_loadcnt 0x0
	v_cmp_eq_u64_e32 vcc_lo, v[10:11], v[12:13]
	v_mov_b64_e32 v[12:13], v[10:11]
	s_or_b32 s11, vcc_lo, s11
	s_delay_alu instid0(SALU_CYCLE_1)
	s_and_not1_b32 exec_lo, exec_lo, s11
	s_cbranch_execnz .LBB8_70
.LBB8_71:                               ;   in Loop: Header=BB8_3 Depth=1
	s_or_b32 exec_lo, exec_lo, s10
	global_load_b64 v[10:11], v7, s[2:3] offset:16
	s_mov_b32 s11, exec_lo
	s_mov_b32 s10, exec_lo
	v_mbcnt_lo_u32_b32 v0, s11, 0
	s_wait_xcnt 0x0
	s_delay_alu instid0(VALU_DEP_1)
	v_cmpx_eq_u32_e32 0, v0
	s_cbranch_execz .LBB8_73
; %bb.72:                               ;   in Loop: Header=BB8_3 Depth=1
	s_bcnt1_i32_b32 s11, s11
	s_delay_alu instid0(SALU_CYCLE_1)
	v_dual_mov_b32 v13, v7 :: v_dual_mov_b32 v12, s11
	global_wb scope:SCOPE_SYS
	s_wait_loadcnt 0x0
	s_wait_storecnt 0x0
	global_atomic_add_u64 v[10:11], v[12:13], off offset:8 scope:SCOPE_SYS
.LBB8_73:                               ;   in Loop: Header=BB8_3 Depth=1
	s_wait_xcnt 0x0
	s_or_b32 exec_lo, exec_lo, s10
	s_wait_loadcnt 0x0
	global_load_b64 v[12:13], v[10:11], off offset:16
	s_wait_loadcnt 0x0
	v_cmp_eq_u64_e32 vcc_lo, 0, v[12:13]
	s_cbranch_vccnz .LBB8_75
; %bb.74:                               ;   in Loop: Header=BB8_3 Depth=1
	global_load_b32 v10, v[10:11], off offset:24
	s_wait_xcnt 0x0
	v_mov_b32_e32 v11, v7
	s_wait_loadcnt 0x0
	v_readfirstlane_b32 s10, v10
	global_wb scope:SCOPE_SYS
	s_wait_storecnt 0x0
	global_store_b64 v[12:13], v[10:11], off scope:SCOPE_SYS
	s_and_b32 m0, s10, 0xffffff
	s_sendmsg sendmsg(MSG_INTERRUPT)
.LBB8_75:                               ;   in Loop: Header=BB8_3 Depth=1
	s_wait_xcnt 0x0
	s_or_b32 exec_lo, exec_lo, s1
	v_add_nc_u64_e32 v[10:11], v[28:29], v[6:7]
	s_branch .LBB8_79
.LBB8_76:                               ;   in Loop: Header=BB8_79 Depth=2
	s_wait_xcnt 0x0
	s_or_b32 exec_lo, exec_lo, s1
	s_delay_alu instid0(VALU_DEP_1)
	v_readfirstlane_b32 s1, v0
	s_cmp_eq_u32 s1, 0
	s_cbranch_scc1 .LBB8_78
; %bb.77:                               ;   in Loop: Header=BB8_79 Depth=2
	s_sleep 1
	s_cbranch_execnz .LBB8_79
	s_branch .LBB8_81
.LBB8_78:                               ;   in Loop: Header=BB8_3 Depth=1
	s_branch .LBB8_81
.LBB8_79:                               ;   Parent Loop BB8_3 Depth=1
                                        ; =>  This Inner Loop Header: Depth=2
	v_mov_b32_e32 v0, 1
	s_and_saveexec_b32 s1, s0
	s_cbranch_execz .LBB8_76
; %bb.80:                               ;   in Loop: Header=BB8_79 Depth=2
	global_load_b32 v0, v[36:37], off offset:20 scope:SCOPE_SYS
	s_wait_loadcnt 0x0
	global_inv scope:SCOPE_SYS
	v_and_b32_e32 v0, 1, v0
	s_branch .LBB8_76
.LBB8_81:                               ;   in Loop: Header=BB8_3 Depth=1
	global_load_b128 v[10:13], v[10:11], off
	s_wait_xcnt 0x0
	s_and_saveexec_b32 s10, s0
	s_cbranch_execz .LBB8_2
; %bb.82:                               ;   in Loop: Header=BB8_3 Depth=1
	s_wait_loadcnt 0x0
	s_clause 0x2
	global_load_b64 v[12:13], v7, s[2:3] offset:40
	global_load_b64 v[20:21], v7, s[2:3] offset:24 scope:SCOPE_SYS
	global_load_b64 v[14:15], v7, s[2:3]
	s_wait_loadcnt 0x2
	v_readfirstlane_b32 s12, v12
	v_readfirstlane_b32 s13, v13
	s_add_nc_u64 s[0:1], s[12:13], 1
	s_delay_alu instid0(SALU_CYCLE_1) | instskip(NEXT) | instid1(SALU_CYCLE_1)
	s_add_nc_u64 s[4:5], s[0:1], s[4:5]
	s_cmp_eq_u64 s[4:5], 0
	s_cselect_b32 s1, s1, s5
	s_cselect_b32 s0, s0, s4
	s_delay_alu instid0(SALU_CYCLE_1) | instskip(SKIP_1) | instid1(SALU_CYCLE_1)
	v_dual_mov_b32 v19, s1 :: v_dual_mov_b32 v18, s0
	s_and_b64 s[4:5], s[0:1], s[12:13]
	s_mul_u64 s[4:5], s[4:5], 24
	s_wait_loadcnt 0x0
	v_add_nc_u64_e32 v[16:17], s[4:5], v[14:15]
	global_store_b64 v[16:17], v[20:21], off
	global_wb scope:SCOPE_SYS
	s_wait_storecnt 0x0
	s_wait_xcnt 0x0
	global_atomic_cmpswap_b64 v[14:15], v7, v[18:21], s[2:3] offset:24 th:TH_ATOMIC_RETURN scope:SCOPE_SYS
	s_wait_loadcnt 0x0
	v_cmp_ne_u64_e32 vcc_lo, v[14:15], v[20:21]
	s_and_b32 exec_lo, exec_lo, vcc_lo
	s_cbranch_execz .LBB8_2
; %bb.83:                               ;   in Loop: Header=BB8_3 Depth=1
	s_mov_b32 s4, 0
.LBB8_84:                               ;   Parent Loop BB8_3 Depth=1
                                        ; =>  This Inner Loop Header: Depth=2
	v_dual_mov_b32 v12, s0 :: v_dual_mov_b32 v13, s1
	s_sleep 1
	global_store_b64 v[16:17], v[14:15], off
	global_wb scope:SCOPE_SYS
	s_wait_storecnt 0x0
	s_wait_xcnt 0x0
	global_atomic_cmpswap_b64 v[12:13], v7, v[12:15], s[2:3] offset:24 th:TH_ATOMIC_RETURN scope:SCOPE_SYS
	s_wait_loadcnt 0x0
	v_cmp_eq_u64_e32 vcc_lo, v[12:13], v[14:15]
	v_mov_b64_e32 v[14:15], v[12:13]
	s_or_b32 s4, vcc_lo, s4
	s_delay_alu instid0(SALU_CYCLE_1)
	s_and_not1_b32 exec_lo, exec_lo, s4
	s_cbranch_execnz .LBB8_84
	s_branch .LBB8_2
.LBB8_85:
	s_or_b32 exec_lo, exec_lo, s7
	s_branch .LBB8_114
.LBB8_86:
	s_load_b64 s[2:3], s[8:9], 0x50
	v_readfirstlane_b32 s0, v30
	v_mov_b64_e32 v[8:9], 0
	s_delay_alu instid0(VALU_DEP_2)
	v_cmp_eq_u32_e64 s0, s0, v30
	s_and_saveexec_b32 s1, s0
	s_cbranch_execz .LBB8_92
; %bb.87:
	v_mov_b32_e32 v0, 0
	s_mov_b32 s4, exec_lo
	s_wait_kmcnt 0x0
	global_load_b64 v[6:7], v0, s[2:3] offset:24 scope:SCOPE_SYS
	s_wait_loadcnt 0x0
	global_inv scope:SCOPE_SYS
	s_clause 0x1
	global_load_b64 v[4:5], v0, s[2:3] offset:40
	global_load_b64 v[8:9], v0, s[2:3]
	s_wait_loadcnt 0x1
	v_and_b32_e32 v4, v4, v6
	v_and_b32_e32 v5, v5, v7
	s_delay_alu instid0(VALU_DEP_1) | instskip(SKIP_1) | instid1(VALU_DEP_1)
	v_mul_u64_e32 v[4:5], 24, v[4:5]
	s_wait_loadcnt 0x0
	v_add_nc_u64_e32 v[4:5], v[8:9], v[4:5]
	global_load_b64 v[4:5], v[4:5], off scope:SCOPE_SYS
	s_wait_xcnt 0x0
	s_wait_loadcnt 0x0
	global_atomic_cmpswap_b64 v[8:9], v0, v[4:7], s[2:3] offset:24 th:TH_ATOMIC_RETURN scope:SCOPE_SYS
	s_wait_loadcnt 0x0
	global_inv scope:SCOPE_SYS
	s_wait_xcnt 0x0
	v_cmpx_ne_u64_e64 v[8:9], v[6:7]
	s_cbranch_execz .LBB8_91
; %bb.88:
	s_mov_b32 s5, 0
.LBB8_89:                               ; =>This Inner Loop Header: Depth=1
	s_sleep 1
	s_clause 0x1
	global_load_b64 v[4:5], v0, s[2:3] offset:40
	global_load_b64 v[10:11], v0, s[2:3]
	v_mov_b64_e32 v[6:7], v[8:9]
	s_wait_loadcnt 0x1
	s_delay_alu instid0(VALU_DEP_1) | instskip(SKIP_1) | instid1(VALU_DEP_1)
	v_and_b32_e32 v2, v4, v6
	s_wait_loadcnt 0x0
	v_mad_nc_u64_u32 v[8:9], v2, 24, v[10:11]
	s_delay_alu instid0(VALU_DEP_3) | instskip(NEXT) | instid1(VALU_DEP_1)
	v_and_b32_e32 v2, v5, v7
	v_mad_u32 v9, v2, 24, v9
	global_load_b64 v[4:5], v[8:9], off scope:SCOPE_SYS
	s_wait_xcnt 0x0
	s_wait_loadcnt 0x0
	global_atomic_cmpswap_b64 v[8:9], v0, v[4:7], s[2:3] offset:24 th:TH_ATOMIC_RETURN scope:SCOPE_SYS
	s_wait_loadcnt 0x0
	global_inv scope:SCOPE_SYS
	v_cmp_eq_u64_e32 vcc_lo, v[8:9], v[6:7]
	s_or_b32 s5, vcc_lo, s5
	s_wait_xcnt 0x0
	s_and_not1_b32 exec_lo, exec_lo, s5
	s_cbranch_execnz .LBB8_89
; %bb.90:
	s_or_b32 exec_lo, exec_lo, s5
.LBB8_91:
	s_delay_alu instid0(SALU_CYCLE_1)
	s_or_b32 exec_lo, exec_lo, s4
.LBB8_92:
	s_delay_alu instid0(SALU_CYCLE_1)
	s_or_b32 exec_lo, exec_lo, s1
	v_readfirstlane_b32 s4, v8
	v_mov_b32_e32 v2, 0
	v_readfirstlane_b32 s5, v9
	s_mov_b32 s1, exec_lo
	s_wait_loadcnt 0x0
	s_wait_kmcnt 0x0
	s_clause 0x1
	global_load_b64 v[10:11], v2, s[2:3] offset:40
	global_load_b128 v[4:7], v2, s[2:3]
	s_wait_loadcnt 0x1
	v_and_b32_e32 v10, s4, v10
	v_and_b32_e32 v11, s5, v11
	s_delay_alu instid0(VALU_DEP_1) | instskip(SKIP_1) | instid1(VALU_DEP_1)
	v_mul_u64_e32 v[8:9], 24, v[10:11]
	s_wait_loadcnt 0x0
	v_add_nc_u64_e32 v[8:9], v[4:5], v[8:9]
	s_wait_xcnt 0x0
	s_and_saveexec_b32 s6, s0
	s_cbranch_execz .LBB8_94
; %bb.93:
	v_mov_b64_e32 v[14:15], 0x100000002
	v_dual_mov_b32 v12, s1 :: v_dual_mov_b32 v13, v2
	global_store_b128 v[8:9], v[12:15], off offset:8
.LBB8_94:
	s_wait_xcnt 0x0
	s_or_b32 exec_lo, exec_lo, s6
	v_lshlrev_b64_e32 v[10:11], 12, v[10:11]
	s_mov_b32 s8, 0
	v_and_or_b32 v0, 0xffffff1f, v3, 32
	s_mov_b32 s10, s8
	s_mov_b32 s11, s8
	s_mov_b32 s9, s8
	v_dual_mov_b32 v3, v2 :: v_dual_lshlrev_b32 v14, 6, v30
	v_add_nc_u64_e32 v[6:7], v[6:7], v[10:11]
	v_mov_b64_e32 v[12:13], s[10:11]
	v_mov_b64_e32 v[10:11], s[8:9]
	s_delay_alu instid0(VALU_DEP_3) | instskip(NEXT) | instid1(VALU_DEP_4)
	v_readfirstlane_b32 s6, v6
	v_readfirstlane_b32 s7, v7
	s_clause 0x3
	global_store_b128 v14, v[0:3], s[6:7]
	global_store_b128 v14, v[10:13], s[6:7] offset:16
	global_store_b128 v14, v[10:13], s[6:7] offset:32
	;; [unrolled: 1-line block ×3, first 2 shown]
	s_wait_xcnt 0x0
	s_and_saveexec_b32 s1, s0
	s_cbranch_execz .LBB8_102
; %bb.95:
	v_dual_mov_b32 v6, 0 :: v_dual_mov_b32 v11, s5
	s_mov_b32 s6, exec_lo
	s_clause 0x1
	global_load_b64 v[12:13], v6, s[2:3] offset:32 scope:SCOPE_SYS
	global_load_b64 v[0:1], v6, s[2:3] offset:40
	s_wait_loadcnt 0x0
	v_dual_mov_b32 v10, s4 :: v_dual_bitop2_b32 v1, s5, v1 bitop3:0x40
	v_and_b32_e32 v0, s4, v0
	s_delay_alu instid0(VALU_DEP_1) | instskip(NEXT) | instid1(VALU_DEP_1)
	v_mul_u64_e32 v[0:1], 24, v[0:1]
	v_add_nc_u64_e32 v[4:5], v[4:5], v[0:1]
	global_store_b64 v[4:5], v[12:13], off
	global_wb scope:SCOPE_SYS
	s_wait_storecnt 0x0
	s_wait_xcnt 0x0
	global_atomic_cmpswap_b64 v[2:3], v6, v[10:13], s[2:3] offset:32 th:TH_ATOMIC_RETURN scope:SCOPE_SYS
	s_wait_loadcnt 0x0
	v_cmpx_ne_u64_e64 v[2:3], v[12:13]
	s_cbranch_execz .LBB8_98
; %bb.96:
	s_mov_b32 s7, 0
.LBB8_97:                               ; =>This Inner Loop Header: Depth=1
	v_dual_mov_b32 v0, s4 :: v_dual_mov_b32 v1, s5
	s_sleep 1
	global_store_b64 v[4:5], v[2:3], off
	global_wb scope:SCOPE_SYS
	s_wait_storecnt 0x0
	s_wait_xcnt 0x0
	global_atomic_cmpswap_b64 v[0:1], v6, v[0:3], s[2:3] offset:32 th:TH_ATOMIC_RETURN scope:SCOPE_SYS
	s_wait_loadcnt 0x0
	v_cmp_eq_u64_e32 vcc_lo, v[0:1], v[2:3]
	v_mov_b64_e32 v[2:3], v[0:1]
	s_or_b32 s7, vcc_lo, s7
	s_delay_alu instid0(SALU_CYCLE_1)
	s_and_not1_b32 exec_lo, exec_lo, s7
	s_cbranch_execnz .LBB8_97
.LBB8_98:
	s_or_b32 exec_lo, exec_lo, s6
	v_mov_b32_e32 v3, 0
	s_mov_b32 s7, exec_lo
	s_mov_b32 s6, exec_lo
	v_mbcnt_lo_u32_b32 v2, s7, 0
	global_load_b64 v[0:1], v3, s[2:3] offset:16
	s_wait_xcnt 0x0
	v_cmpx_eq_u32_e32 0, v2
	s_cbranch_execz .LBB8_100
; %bb.99:
	s_bcnt1_i32_b32 s7, s7
	s_delay_alu instid0(SALU_CYCLE_1)
	v_mov_b32_e32 v2, s7
	global_wb scope:SCOPE_SYS
	s_wait_loadcnt 0x0
	s_wait_storecnt 0x0
	global_atomic_add_u64 v[0:1], v[2:3], off offset:8 scope:SCOPE_SYS
.LBB8_100:
	s_wait_xcnt 0x0
	s_or_b32 exec_lo, exec_lo, s6
	s_wait_loadcnt 0x0
	global_load_b64 v[2:3], v[0:1], off offset:16
	s_wait_loadcnt 0x0
	v_cmp_eq_u64_e32 vcc_lo, 0, v[2:3]
	s_cbranch_vccnz .LBB8_102
; %bb.101:
	global_load_b32 v0, v[0:1], off offset:24
	s_wait_xcnt 0x0
	v_mov_b32_e32 v1, 0
	s_wait_loadcnt 0x0
	v_readfirstlane_b32 s6, v0
	global_wb scope:SCOPE_SYS
	s_wait_storecnt 0x0
	global_store_b64 v[2:3], v[0:1], off scope:SCOPE_SYS
	s_and_b32 m0, s6, 0xffffff
	s_sendmsg sendmsg(MSG_INTERRUPT)
.LBB8_102:
	s_wait_xcnt 0x0
	s_or_b32 exec_lo, exec_lo, s1
	s_branch .LBB8_106
.LBB8_103:                              ;   in Loop: Header=BB8_106 Depth=1
	s_wait_xcnt 0x0
	s_or_b32 exec_lo, exec_lo, s1
	s_delay_alu instid0(VALU_DEP_1)
	v_readfirstlane_b32 s1, v0
	s_cmp_eq_u32 s1, 0
	s_cbranch_scc1 .LBB8_105
; %bb.104:                              ;   in Loop: Header=BB8_106 Depth=1
	s_sleep 1
	s_cbranch_execnz .LBB8_106
	s_branch .LBB8_108
.LBB8_105:
	s_branch .LBB8_108
.LBB8_106:                              ; =>This Inner Loop Header: Depth=1
	v_mov_b32_e32 v0, 1
	s_and_saveexec_b32 s1, s0
	s_cbranch_execz .LBB8_103
; %bb.107:                              ;   in Loop: Header=BB8_106 Depth=1
	global_load_b32 v0, v[8:9], off offset:20 scope:SCOPE_SYS
	s_wait_loadcnt 0x0
	global_inv scope:SCOPE_SYS
	v_and_b32_e32 v0, 1, v0
	s_branch .LBB8_103
.LBB8_108:
	s_and_saveexec_b32 s6, s0
	s_cbranch_execz .LBB8_112
; %bb.109:
	v_mov_b32_e32 v6, 0
	s_clause 0x2
	global_load_b64 v[0:1], v6, s[2:3] offset:40
	global_load_b64 v[10:11], v6, s[2:3] offset:24 scope:SCOPE_SYS
	global_load_b64 v[2:3], v6, s[2:3]
	s_wait_loadcnt 0x2
	v_readfirstlane_b32 s8, v0
	v_readfirstlane_b32 s9, v1
	s_add_nc_u64 s[0:1], s[8:9], 1
	s_delay_alu instid0(SALU_CYCLE_1) | instskip(NEXT) | instid1(SALU_CYCLE_1)
	s_add_nc_u64 s[4:5], s[0:1], s[4:5]
	s_cmp_eq_u64 s[4:5], 0
	s_cselect_b32 s1, s1, s5
	s_cselect_b32 s0, s0, s4
	v_mov_b32_e32 v9, s1
	s_and_b64 s[4:5], s[0:1], s[8:9]
	v_mov_b32_e32 v8, s0
	s_mul_u64 s[4:5], s[4:5], 24
	s_wait_loadcnt 0x0
	v_add_nc_u64_e32 v[4:5], s[4:5], v[2:3]
	global_store_b64 v[4:5], v[10:11], off
	global_wb scope:SCOPE_SYS
	s_wait_storecnt 0x0
	s_wait_xcnt 0x0
	global_atomic_cmpswap_b64 v[2:3], v6, v[8:11], s[2:3] offset:24 th:TH_ATOMIC_RETURN scope:SCOPE_SYS
	s_wait_loadcnt 0x0
	v_cmp_ne_u64_e32 vcc_lo, v[2:3], v[10:11]
	s_and_b32 exec_lo, exec_lo, vcc_lo
	s_cbranch_execz .LBB8_112
; %bb.110:
	s_mov_b32 s4, 0
.LBB8_111:                              ; =>This Inner Loop Header: Depth=1
	v_dual_mov_b32 v0, s0 :: v_dual_mov_b32 v1, s1
	s_sleep 1
	global_store_b64 v[4:5], v[2:3], off
	global_wb scope:SCOPE_SYS
	s_wait_storecnt 0x0
	s_wait_xcnt 0x0
	global_atomic_cmpswap_b64 v[0:1], v6, v[0:3], s[2:3] offset:24 th:TH_ATOMIC_RETURN scope:SCOPE_SYS
	s_wait_loadcnt 0x0
	v_cmp_eq_u64_e32 vcc_lo, v[0:1], v[2:3]
	v_mov_b64_e32 v[2:3], v[0:1]
	s_or_b32 s4, vcc_lo, s4
	s_delay_alu instid0(SALU_CYCLE_1)
	s_and_not1_b32 exec_lo, exec_lo, s4
	s_cbranch_execnz .LBB8_111
.LBB8_112:
	s_or_b32 exec_lo, exec_lo, s6
	s_wait_loadcnt 0x0
	s_wait_kmcnt 0x0
	s_set_pc_i64 s[30:31]
.LBB8_113:
	s_cbranch_execnz .LBB8_86
.LBB8_114:
	s_wait_loadcnt 0x0
	s_wait_kmcnt 0x0
	s_set_pc_i64 s[30:31]
.Lfunc_end8:
	.size	__ockl_fprintf_append_string_n, .Lfunc_end8-__ockl_fprintf_append_string_n
                                        ; -- End function
	.set .L__ockl_fprintf_append_string_n.num_vgpr, 40
	.set .L__ockl_fprintf_append_string_n.num_agpr, 0
	.set .L__ockl_fprintf_append_string_n.numbered_sgpr, 32
	.set .L__ockl_fprintf_append_string_n.num_named_barrier, 0
	.set .L__ockl_fprintf_append_string_n.private_seg_size, 0
	.set .L__ockl_fprintf_append_string_n.uses_vcc, 1
	.set .L__ockl_fprintf_append_string_n.uses_flat_scratch, 0
	.set .L__ockl_fprintf_append_string_n.has_dyn_sized_stack, 0
	.set .L__ockl_fprintf_append_string_n.has_recursion, 0
	.set .L__ockl_fprintf_append_string_n.has_indirect_call, 0
	.section	.AMDGPU.csdata,"",@progbits
; Function info:
; codeLenInByte = 4324
; TotalNumSgprs: 34
; NumVgprs: 40
; ScratchSize: 0
; MemoryBound: 0
	.text
	.p2align	2                               ; -- Begin function __assert_fail
	.type	__assert_fail,@function
__assert_fail:                          ; @__assert_fail
; %bb.0:
	s_wait_loadcnt_dscnt 0x0
	s_wait_kmcnt 0x0
	s_mov_b32 s20, s33
	s_mov_b32 s33, s32
	s_or_saveexec_b32 s0, -1
	scratch_store_b32 off, v40, s33 offset:48 ; 4-byte Folded Spill
	s_wait_xcnt 0x0
	s_mov_b32 exec_lo, s0
	v_writelane_b32 v40, s30, 0
	s_add_co_i32 s32, s32, 64
	v_writelane_b32 v40, s31, 1
	v_dual_mov_b32 v31, v2 :: v_dual_mov_b32 v30, v1
	v_mov_b32_e32 v1, 0
	s_get_pc_i64 s[0:1]
	s_add_nc_u64 s[0:1], s[0:1], __const.__assert_fail.fmt@rel64+35
	s_get_pc_i64 s[10:11]
	s_add_nc_u64 s[10:11], s[10:11], __const.__assert_fail.fmt@rel64+20
	v_mbcnt_lo_u32_b32 v50, -1, 0
	v_mov_b64_e32 v[6:7], 0
	global_load_b128 v[2:5], v1, s[0:1]
	s_wait_xcnt 0x0
	s_get_pc_i64 s[0:1]
	s_add_nc_u64 s[0:1], s[0:1], __const.__assert_fail.fmt@rel64+4
	s_clause 0x1
	s_load_b128 s[4:7], s[0:1], 0x0
	s_load_b128 s[12:15], s[10:11], 0x0
	s_load_b64 s[2:3], s[8:9], 0x50
	s_wait_xcnt 0x0
	v_readfirstlane_b32 s0, v50
	s_delay_alu instid0(VALU_DEP_1)
	v_cmp_eq_u32_e64 s0, s0, v50
	s_wait_kmcnt 0x0
	v_mov_b64_e32 v[10:11], s[6:7]
	v_mov_b64_e32 v[8:9], s[4:5]
	;; [unrolled: 1-line block ×4, first 2 shown]
	s_clause 0x1
	scratch_store_b128 off, v[8:11], s33
	scratch_store_b128 off, v[12:15], s33 offset:16
	s_wait_loadcnt 0x0
	scratch_store_b128 off, v[2:5], s33 offset:31
	s_wait_xcnt 0x0
	s_and_saveexec_b32 s1, s0
	s_cbranch_execz .LBB9_6
; %bb.1:
	global_load_b64 v[4:5], v1, s[2:3] offset:24 scope:SCOPE_SYS
	s_wait_loadcnt 0x0
	global_inv scope:SCOPE_SYS
	s_clause 0x1
	global_load_b64 v[2:3], v1, s[2:3] offset:40
	global_load_b64 v[6:7], v1, s[2:3]
	s_mov_b32 s4, exec_lo
	s_wait_loadcnt 0x1
	v_and_b32_e32 v2, v2, v4
	v_and_b32_e32 v3, v3, v5
	s_delay_alu instid0(VALU_DEP_1) | instskip(SKIP_1) | instid1(VALU_DEP_1)
	v_mul_u64_e32 v[2:3], 24, v[2:3]
	s_wait_loadcnt 0x0
	v_add_nc_u64_e32 v[2:3], v[6:7], v[2:3]
	global_load_b64 v[2:3], v[2:3], off scope:SCOPE_SYS
	s_wait_xcnt 0x0
	s_wait_loadcnt 0x0
	global_atomic_cmpswap_b64 v[6:7], v1, v[2:5], s[2:3] offset:24 th:TH_ATOMIC_RETURN scope:SCOPE_SYS
	s_wait_loadcnt 0x0
	global_inv scope:SCOPE_SYS
	s_wait_xcnt 0x0
	v_cmpx_ne_u64_e64 v[6:7], v[4:5]
	s_cbranch_execz .LBB9_5
; %bb.2:
	v_mov_b32_e32 v2, 0
	s_mov_b32 s5, 0
.LBB9_3:                                ; =>This Inner Loop Header: Depth=1
	s_sleep 1
	s_clause 0x1
	global_load_b64 v[4:5], v2, s[2:3] offset:40
	global_load_b64 v[10:11], v2, s[2:3]
	v_mov_b64_e32 v[8:9], v[6:7]
	s_wait_loadcnt 0x1
	s_delay_alu instid0(VALU_DEP_1) | instskip(SKIP_1) | instid1(VALU_DEP_1)
	v_and_b32_e32 v3, v4, v8
	s_wait_loadcnt 0x0
	v_mad_nc_u64_u32 v[6:7], v3, 24, v[10:11]
	s_delay_alu instid0(VALU_DEP_3) | instskip(NEXT) | instid1(VALU_DEP_1)
	v_and_b32_e32 v3, v5, v9
	v_mad_u32 v7, v3, 24, v7
	global_load_b64 v[6:7], v[6:7], off scope:SCOPE_SYS
	s_wait_xcnt 0x0
	s_wait_loadcnt 0x0
	global_atomic_cmpswap_b64 v[6:7], v2, v[6:9], s[2:3] offset:24 th:TH_ATOMIC_RETURN scope:SCOPE_SYS
	s_wait_loadcnt 0x0
	global_inv scope:SCOPE_SYS
	v_cmp_eq_u64_e32 vcc_lo, v[6:7], v[8:9]
	s_or_b32 s5, vcc_lo, s5
	s_wait_xcnt 0x0
	s_and_not1_b32 exec_lo, exec_lo, s5
	s_cbranch_execnz .LBB9_3
; %bb.4:
	s_or_b32 exec_lo, exec_lo, s5
.LBB9_5:
	s_delay_alu instid0(SALU_CYCLE_1)
	s_or_b32 exec_lo, exec_lo, s4
.LBB9_6:
	s_delay_alu instid0(SALU_CYCLE_1)
	s_or_b32 exec_lo, exec_lo, s1
	s_clause 0x1
	global_load_b64 v[8:9], v1, s[2:3] offset:40
	global_load_b128 v[2:5], v1, s[2:3]
	v_readfirstlane_b32 s4, v6
	v_readfirstlane_b32 s5, v7
	s_mov_b32 s1, exec_lo
	s_wait_loadcnt 0x1
	v_and_b32_e32 v8, s4, v8
	v_and_b32_e32 v9, s5, v9
	s_delay_alu instid0(VALU_DEP_1) | instskip(SKIP_1) | instid1(VALU_DEP_1)
	v_mul_u64_e32 v[6:7], 24, v[8:9]
	s_wait_loadcnt 0x0
	v_add_nc_u64_e32 v[6:7], v[2:3], v[6:7]
	s_wait_xcnt 0x0
	s_and_saveexec_b32 s6, s0
	s_cbranch_execz .LBB9_8
; %bb.7:
	v_mov_b64_e32 v[12:13], 0x100000002
	v_dual_mov_b32 v10, s1 :: v_dual_mov_b32 v11, 0
	global_store_b128 v[6:7], v[10:13], off offset:8
.LBB9_8:
	s_wait_xcnt 0x0
	s_or_b32 exec_lo, exec_lo, s6
	v_lshlrev_b64_e32 v[8:9], 12, v[8:9]
	s_mov_b32 s12, 0
	v_dual_mov_b32 v29, 0 :: v_dual_lshlrev_b32 v28, 6, v50
	s_mov_b32 s14, s12
	s_mov_b32 s15, s12
	;; [unrolled: 1-line block ×3, first 2 shown]
	s_delay_alu instid0(VALU_DEP_2)
	v_add_nc_u64_e32 v[8:9], v[4:5], v[8:9]
	v_mov_b64_e32 v[16:17], s[14:15]
	v_mov_b64_e32 v[14:15], s[12:13]
	v_dual_mov_b32 v10, 33 :: v_dual_mov_b32 v12, 1
	v_dual_mov_b32 v11, v29 :: v_dual_mov_b32 v13, v29
	v_readfirstlane_b32 s6, v8
	v_readfirstlane_b32 s7, v9
	s_clause 0x3
	global_store_b128 v28, v[10:13], s[6:7]
	global_store_b128 v28, v[14:17], s[6:7] offset:16
	global_store_b128 v28, v[14:17], s[6:7] offset:32
	;; [unrolled: 1-line block ×3, first 2 shown]
	s_wait_xcnt 0x0
	s_and_saveexec_b32 s1, s0
	s_cbranch_execz .LBB9_16
; %bb.9:
	s_clause 0x1
	global_load_b64 v[14:15], v29, s[2:3] offset:32 scope:SCOPE_SYS
	global_load_b64 v[4:5], v29, s[2:3] offset:40
	s_mov_b32 s6, exec_lo
	v_dual_mov_b32 v12, s4 :: v_dual_mov_b32 v13, s5
	s_wait_loadcnt 0x0
	v_and_b32_e32 v5, s5, v5
	v_and_b32_e32 v4, s4, v4
	s_delay_alu instid0(VALU_DEP_1) | instskip(NEXT) | instid1(VALU_DEP_1)
	v_mul_u64_e32 v[4:5], 24, v[4:5]
	v_add_nc_u64_e32 v[10:11], v[2:3], v[4:5]
	global_store_b64 v[10:11], v[14:15], off
	global_wb scope:SCOPE_SYS
	s_wait_storecnt 0x0
	s_wait_xcnt 0x0
	global_atomic_cmpswap_b64 v[4:5], v29, v[12:15], s[2:3] offset:32 th:TH_ATOMIC_RETURN scope:SCOPE_SYS
	s_wait_loadcnt 0x0
	v_cmpx_ne_u64_e64 v[4:5], v[14:15]
	s_cbranch_execz .LBB9_12
; %bb.10:
	v_mov_b32_e32 v1, 0
	s_mov_b32 s7, 0
.LBB9_11:                               ; =>This Inner Loop Header: Depth=1
	v_dual_mov_b32 v2, s4 :: v_dual_mov_b32 v3, s5
	s_sleep 1
	global_store_b64 v[10:11], v[4:5], off
	global_wb scope:SCOPE_SYS
	s_wait_storecnt 0x0
	s_wait_xcnt 0x0
	global_atomic_cmpswap_b64 v[2:3], v1, v[2:5], s[2:3] offset:32 th:TH_ATOMIC_RETURN scope:SCOPE_SYS
	s_wait_loadcnt 0x0
	v_cmp_eq_u64_e32 vcc_lo, v[2:3], v[4:5]
	v_mov_b64_e32 v[4:5], v[2:3]
	s_or_b32 s7, vcc_lo, s7
	s_delay_alu instid0(SALU_CYCLE_1)
	s_and_not1_b32 exec_lo, exec_lo, s7
	s_cbranch_execnz .LBB9_11
.LBB9_12:
	s_or_b32 exec_lo, exec_lo, s6
	v_mov_b32_e32 v5, 0
	s_mov_b32 s7, exec_lo
	s_mov_b32 s6, exec_lo
	v_mbcnt_lo_u32_b32 v1, s7, 0
	global_load_b64 v[2:3], v5, s[2:3] offset:16
	s_wait_xcnt 0x0
	v_cmpx_eq_u32_e32 0, v1
	s_cbranch_execz .LBB9_14
; %bb.13:
	s_bcnt1_i32_b32 s7, s7
	s_delay_alu instid0(SALU_CYCLE_1)
	v_mov_b32_e32 v4, s7
	global_wb scope:SCOPE_SYS
	s_wait_loadcnt 0x0
	s_wait_storecnt 0x0
	global_atomic_add_u64 v[2:3], v[4:5], off offset:8 scope:SCOPE_SYS
.LBB9_14:
	s_wait_xcnt 0x0
	s_or_b32 exec_lo, exec_lo, s6
	s_wait_loadcnt 0x0
	global_load_b64 v[4:5], v[2:3], off offset:16
	s_wait_loadcnt 0x0
	v_cmp_eq_u64_e32 vcc_lo, 0, v[4:5]
	s_cbranch_vccnz .LBB9_16
; %bb.15:
	global_load_b32 v2, v[2:3], off offset:24
	s_wait_xcnt 0x0
	v_mov_b32_e32 v3, 0
	s_wait_loadcnt 0x0
	v_readfirstlane_b32 s6, v2
	global_wb scope:SCOPE_SYS
	s_wait_storecnt 0x0
	global_store_b64 v[4:5], v[2:3], off scope:SCOPE_SYS
	s_and_b32 m0, s6, 0xffffff
	s_sendmsg sendmsg(MSG_INTERRUPT)
.LBB9_16:
	s_wait_xcnt 0x0
	s_or_b32 exec_lo, exec_lo, s1
	v_add_nc_u64_e32 v[2:3], v[8:9], v[28:29]
	s_branch .LBB9_20
.LBB9_17:                               ;   in Loop: Header=BB9_20 Depth=1
	s_wait_xcnt 0x0
	s_or_b32 exec_lo, exec_lo, s1
	s_delay_alu instid0(VALU_DEP_1)
	v_readfirstlane_b32 s1, v1
	s_cmp_eq_u32 s1, 0
	s_cbranch_scc1 .LBB9_19
; %bb.18:                               ;   in Loop: Header=BB9_20 Depth=1
	s_sleep 1
	s_cbranch_execnz .LBB9_20
	s_branch .LBB9_22
.LBB9_19:
	s_branch .LBB9_22
.LBB9_20:                               ; =>This Inner Loop Header: Depth=1
	v_mov_b32_e32 v1, 1
	s_and_saveexec_b32 s1, s0
	s_cbranch_execz .LBB9_17
; %bb.21:                               ;   in Loop: Header=BB9_20 Depth=1
	global_load_b32 v1, v[6:7], off offset:20 scope:SCOPE_SYS
	s_wait_loadcnt 0x0
	global_inv scope:SCOPE_SYS
	v_and_b32_e32 v1, 1, v1
	s_branch .LBB9_17
.LBB9_22:
	global_load_b64 v[6:7], v[2:3], off
	s_wait_xcnt 0x0
	s_and_saveexec_b32 s6, s0
	s_cbranch_execz .LBB9_26
; %bb.23:
	v_mov_b32_e32 v1, 0
	s_clause 0x2
	global_load_b64 v[2:3], v1, s[2:3] offset:40
	global_load_b64 v[12:13], v1, s[2:3] offset:24 scope:SCOPE_SYS
	global_load_b64 v[4:5], v1, s[2:3]
	s_wait_loadcnt 0x2
	v_readfirstlane_b32 s10, v2
	v_readfirstlane_b32 s11, v3
	s_add_nc_u64 s[0:1], s[10:11], 1
	s_delay_alu instid0(SALU_CYCLE_1) | instskip(NEXT) | instid1(SALU_CYCLE_1)
	s_add_nc_u64 s[4:5], s[0:1], s[4:5]
	s_cmp_eq_u64 s[4:5], 0
	s_cselect_b32 s1, s1, s5
	s_cselect_b32 s0, s0, s4
	v_mov_b32_e32 v11, s1
	s_and_b64 s[4:5], s[0:1], s[10:11]
	v_mov_b32_e32 v10, s0
	s_mul_u64 s[4:5], s[4:5], 24
	s_wait_loadcnt 0x0
	v_add_nc_u64_e32 v[8:9], s[4:5], v[4:5]
	global_store_b64 v[8:9], v[12:13], off
	global_wb scope:SCOPE_SYS
	s_wait_storecnt 0x0
	s_wait_xcnt 0x0
	global_atomic_cmpswap_b64 v[4:5], v1, v[10:13], s[2:3] offset:24 th:TH_ATOMIC_RETURN scope:SCOPE_SYS
	s_wait_loadcnt 0x0
	v_cmp_ne_u64_e32 vcc_lo, v[4:5], v[12:13]
	s_and_b32 exec_lo, exec_lo, vcc_lo
	s_cbranch_execz .LBB9_26
; %bb.24:
	s_mov_b32 s4, 0
.LBB9_25:                               ; =>This Inner Loop Header: Depth=1
	v_dual_mov_b32 v2, s0 :: v_dual_mov_b32 v3, s1
	s_sleep 1
	global_store_b64 v[8:9], v[4:5], off
	global_wb scope:SCOPE_SYS
	s_wait_storecnt 0x0
	s_wait_xcnt 0x0
	global_atomic_cmpswap_b64 v[2:3], v1, v[2:5], s[2:3] offset:24 th:TH_ATOMIC_RETURN scope:SCOPE_SYS
	s_wait_loadcnt 0x0
	v_cmp_eq_u64_e32 vcc_lo, v[2:3], v[4:5]
	v_mov_b64_e32 v[4:5], v[2:3]
	s_or_b32 s4, vcc_lo, s4
	s_delay_alu instid0(SALU_CYCLE_1)
	s_and_not1_b32 exec_lo, exec_lo, s4
	s_cbranch_execnz .LBB9_25
.LBB9_26:
	s_or_b32 exec_lo, exec_lo, s6
	s_mov_b32 s1, s33
	s_mov_b32 s0, 0
.LBB9_27:                               ; =>This Inner Loop Header: Depth=1
	scratch_load_u8 v1, off, s1
	s_wait_xcnt 0x0
	s_add_co_i32 s1, s1, 1
	s_wait_loadcnt 0x0
	v_cmp_eq_u16_e32 vcc_lo, 0, v1
	v_mov_b32_e32 v1, s1
	s_or_b32 s0, vcc_lo, s0
	s_delay_alu instid0(SALU_CYCLE_1)
	s_and_not1_b32 exec_lo, exec_lo, s0
	s_cbranch_execnz .LBB9_27
; %bb.28:
	s_or_b32 exec_lo, exec_lo, s0
	s_cmp_lg_u32 s33, -1
	s_cbranch_scc0 .LBB9_113
; %bb.29:
	s_mov_b64 s[0:1], src_flat_scratch_base_lo
	v_mov_b64_e32 v[10:11], 0x100000002
	v_dual_add_nc_u32 v1, s0, v1 :: v_dual_bitop2_b32 v32, 2, v6 bitop3:0x40
	s_add_co_i32 s0, s33, s0
	v_dual_mov_b32 v29, 0 :: v_dual_bitop2_b32 v2, -3, v6 bitop3:0x40
	s_delay_alu instid0(VALU_DEP_2) | instskip(SKIP_3) | instid1(VALU_DEP_2)
	v_subrev_nc_u32_e32 v34, s0, v1
	v_dual_mov_b32 v3, v7 :: v_dual_mov_b32 v1, s33
	s_mov_b32 s7, 0
	s_mov_b32 s6, 0
	v_ashrrev_i32_e32 v35, 31, v34
	s_branch .LBB9_31
.LBB9_30:                               ;   in Loop: Header=BB9_31 Depth=1
	s_or_b32 exec_lo, exec_lo, s10
	v_sub_nc_u64_e32 v[34:35], v[34:35], v[36:37]
	v_add_nc_u32_e32 v1, v1, v36
	s_delay_alu instid0(VALU_DEP_2) | instskip(SKIP_1) | instid1(SALU_CYCLE_1)
	v_cmp_eq_u64_e32 vcc_lo, 0, v[34:35]
	s_or_b32 s6, vcc_lo, s6
	s_and_not1_b32 exec_lo, exec_lo, s6
	s_cbranch_execz .LBB9_192
.LBB9_31:                               ; =>This Loop Header: Depth=1
                                        ;     Child Loop BB9_34 Depth 2
                                        ;     Child Loop BB9_42 Depth 2
	;; [unrolled: 1-line block ×11, first 2 shown]
	s_delay_alu instid0(VALU_DEP_1)
	v_min_u64 v[36:37], v[34:35], 56
	v_add_nc_u32_e32 v9, 8, v1
	s_mov_b32 s0, exec_lo
	v_cmpx_gt_u64_e32 8, v[34:35]
	s_xor_b32 s4, exec_lo, s0
	s_cbranch_execz .LBB9_37
; %bb.32:                               ;   in Loop: Header=BB9_31 Depth=1
	v_mov_b64_e32 v[4:5], 0
	s_mov_b32 s5, exec_lo
	v_cmpx_ne_u64_e32 0, v[34:35]
	s_cbranch_execz .LBB9_36
; %bb.33:                               ;   in Loop: Header=BB9_31 Depth=1
	v_mov_b64_e32 v[4:5], 0
	v_dual_mov_b32 v9, v1 :: v_dual_lshlrev_b32 v8, 3, v36
	s_mov_b64 s[0:1], 0
	s_mov_b32 s10, 0
.LBB9_34:                               ;   Parent Loop BB9_31 Depth=1
                                        ; =>  This Inner Loop Header: Depth=2
	scratch_load_u8 v12, v9, off
	s_wait_xcnt 0x0
	v_dual_mov_b32 v13, s7 :: v_dual_add_nc_u32 v9, 1, v9
	s_wait_loadcnt 0x0
	v_and_b32_e32 v12, 0xffff, v12
	s_delay_alu instid0(VALU_DEP_1) | instskip(SKIP_1) | instid1(SALU_CYCLE_1)
	v_lshlrev_b64_e32 v[12:13], s0, v[12:13]
	s_add_nc_u64 s[0:1], s[0:1], 8
	v_cmp_eq_u32_e32 vcc_lo, s0, v8
	s_delay_alu instid0(VALU_DEP_2) | instskip(NEXT) | instid1(VALU_DEP_3)
	v_or_b32_e32 v5, v13, v5
	v_or_b32_e32 v4, v12, v4
	s_or_b32 s10, vcc_lo, s10
	s_delay_alu instid0(SALU_CYCLE_1)
	s_and_not1_b32 exec_lo, exec_lo, s10
	s_cbranch_execnz .LBB9_34
; %bb.35:                               ;   in Loop: Header=BB9_31 Depth=1
	s_or_b32 exec_lo, exec_lo, s10
.LBB9_36:                               ;   in Loop: Header=BB9_31 Depth=1
	s_delay_alu instid0(SALU_CYCLE_1)
	s_or_b32 exec_lo, exec_lo, s5
	v_mov_b32_e32 v9, v1
.LBB9_37:                               ;   in Loop: Header=BB9_31 Depth=1
	s_or_saveexec_b32 s0, s4
	v_mov_b32_e32 v14, 0
	s_xor_b32 exec_lo, exec_lo, s0
	s_cbranch_execz .LBB9_39
; %bb.38:                               ;   in Loop: Header=BB9_31 Depth=1
	scratch_load_b64 v[4:5], v1, off
	v_add_nc_u32_e32 v14, -8, v36
.LBB9_39:                               ;   in Loop: Header=BB9_31 Depth=1
	s_wait_xcnt 0x0
	s_or_b32 exec_lo, exec_lo, s0
	v_add_nc_u32_e32 v8, 8, v9
                                        ; implicit-def: $vgpr12_vgpr13
	s_mov_b32 s0, exec_lo
	v_cmpx_gt_u32_e32 8, v14
	s_xor_b32 s4, exec_lo, s0
	s_cbranch_execz .LBB9_45
; %bb.40:                               ;   in Loop: Header=BB9_31 Depth=1
	v_mov_b64_e32 v[12:13], 0
	s_mov_b32 s5, exec_lo
	v_cmpx_ne_u32_e32 0, v14
	s_cbranch_execz .LBB9_44
; %bb.41:                               ;   in Loop: Header=BB9_31 Depth=1
	v_mov_b64_e32 v[12:13], 0
	s_mov_b64 s[0:1], 0
	s_mov_b32 s10, 0
	s_mov_b32 s11, 0
.LBB9_42:                               ;   Parent Loop BB9_31 Depth=1
                                        ; =>  This Inner Loop Header: Depth=2
	scratch_load_u8 v8, v9, s11
	v_mov_b32_e32 v17, s7
	s_wait_xcnt 0x0
	s_add_co_i32 s11, s11, 1
	s_delay_alu instid0(SALU_CYCLE_1) | instskip(SKIP_3) | instid1(VALU_DEP_1)
	v_cmp_eq_u32_e32 vcc_lo, s11, v14
	s_or_b32 s10, vcc_lo, s10
	s_wait_loadcnt 0x0
	v_and_b32_e32 v16, 0xffff, v8
	v_lshlrev_b64_e32 v[16:17], s0, v[16:17]
	s_add_nc_u64 s[0:1], s[0:1], 8
	s_delay_alu instid0(VALU_DEP_1) | instskip(NEXT) | instid1(VALU_DEP_2)
	v_or_b32_e32 v13, v17, v13
	v_or_b32_e32 v12, v16, v12
	s_and_not1_b32 exec_lo, exec_lo, s10
	s_cbranch_execnz .LBB9_42
; %bb.43:                               ;   in Loop: Header=BB9_31 Depth=1
	s_or_b32 exec_lo, exec_lo, s10
.LBB9_44:                               ;   in Loop: Header=BB9_31 Depth=1
	s_delay_alu instid0(SALU_CYCLE_1)
	s_or_b32 exec_lo, exec_lo, s5
	v_mov_b32_e32 v8, v9
                                        ; implicit-def: $vgpr14
.LBB9_45:                               ;   in Loop: Header=BB9_31 Depth=1
	s_or_saveexec_b32 s0, s4
	v_mov_b32_e32 v16, 0
	s_xor_b32 exec_lo, exec_lo, s0
	s_cbranch_execz .LBB9_47
; %bb.46:                               ;   in Loop: Header=BB9_31 Depth=1
	scratch_load_b64 v[12:13], v9, off
	v_add_nc_u32_e32 v16, -8, v14
.LBB9_47:                               ;   in Loop: Header=BB9_31 Depth=1
	s_wait_xcnt 0x0
	s_or_b32 exec_lo, exec_lo, s0
	v_add_nc_u32_e32 v9, 8, v8
	s_mov_b32 s0, exec_lo
	v_cmpx_gt_u32_e32 8, v16
	s_xor_b32 s4, exec_lo, s0
	s_cbranch_execz .LBB9_53
; %bb.48:                               ;   in Loop: Header=BB9_31 Depth=1
	v_mov_b64_e32 v[14:15], 0
	s_mov_b32 s5, exec_lo
	v_cmpx_ne_u32_e32 0, v16
	s_cbranch_execz .LBB9_52
; %bb.49:                               ;   in Loop: Header=BB9_31 Depth=1
	v_mov_b64_e32 v[14:15], 0
	s_mov_b64 s[0:1], 0
	s_mov_b32 s10, 0
	s_mov_b32 s11, 0
.LBB9_50:                               ;   Parent Loop BB9_31 Depth=1
                                        ; =>  This Inner Loop Header: Depth=2
	scratch_load_u8 v9, v8, s11
	v_mov_b32_e32 v19, s7
	s_wait_xcnt 0x0
	s_add_co_i32 s11, s11, 1
	s_delay_alu instid0(SALU_CYCLE_1) | instskip(SKIP_3) | instid1(VALU_DEP_1)
	v_cmp_eq_u32_e32 vcc_lo, s11, v16
	s_or_b32 s10, vcc_lo, s10
	s_wait_loadcnt 0x0
	v_and_b32_e32 v18, 0xffff, v9
	v_lshlrev_b64_e32 v[18:19], s0, v[18:19]
	s_add_nc_u64 s[0:1], s[0:1], 8
	s_delay_alu instid0(VALU_DEP_1) | instskip(NEXT) | instid1(VALU_DEP_2)
	v_or_b32_e32 v15, v19, v15
	v_or_b32_e32 v14, v18, v14
	s_and_not1_b32 exec_lo, exec_lo, s10
	s_cbranch_execnz .LBB9_50
; %bb.51:                               ;   in Loop: Header=BB9_31 Depth=1
	s_or_b32 exec_lo, exec_lo, s10
.LBB9_52:                               ;   in Loop: Header=BB9_31 Depth=1
	s_delay_alu instid0(SALU_CYCLE_1)
	s_or_b32 exec_lo, exec_lo, s5
	v_mov_b32_e32 v9, v8
                                        ; implicit-def: $vgpr16
.LBB9_53:                               ;   in Loop: Header=BB9_31 Depth=1
	s_or_saveexec_b32 s0, s4
	v_mov_b32_e32 v18, 0
	s_xor_b32 exec_lo, exec_lo, s0
	s_cbranch_execz .LBB9_55
; %bb.54:                               ;   in Loop: Header=BB9_31 Depth=1
	scratch_load_b64 v[14:15], v8, off
	v_add_nc_u32_e32 v18, -8, v16
.LBB9_55:                               ;   in Loop: Header=BB9_31 Depth=1
	s_wait_xcnt 0x0
	s_or_b32 exec_lo, exec_lo, s0
	v_add_nc_u32_e32 v8, 8, v9
                                        ; implicit-def: $vgpr16_vgpr17
	s_mov_b32 s0, exec_lo
	v_cmpx_gt_u32_e32 8, v18
	s_xor_b32 s4, exec_lo, s0
	s_cbranch_execz .LBB9_61
; %bb.56:                               ;   in Loop: Header=BB9_31 Depth=1
	v_mov_b64_e32 v[16:17], 0
	s_mov_b32 s5, exec_lo
	v_cmpx_ne_u32_e32 0, v18
	s_cbranch_execz .LBB9_60
; %bb.57:                               ;   in Loop: Header=BB9_31 Depth=1
	v_mov_b64_e32 v[16:17], 0
	s_mov_b64 s[0:1], 0
	s_mov_b32 s10, 0
	s_mov_b32 s11, 0
.LBB9_58:                               ;   Parent Loop BB9_31 Depth=1
                                        ; =>  This Inner Loop Header: Depth=2
	scratch_load_u8 v8, v9, s11
	v_mov_b32_e32 v21, s7
	s_wait_xcnt 0x0
	s_add_co_i32 s11, s11, 1
	s_delay_alu instid0(SALU_CYCLE_1) | instskip(SKIP_3) | instid1(VALU_DEP_1)
	v_cmp_eq_u32_e32 vcc_lo, s11, v18
	s_or_b32 s10, vcc_lo, s10
	s_wait_loadcnt 0x0
	v_and_b32_e32 v20, 0xffff, v8
	v_lshlrev_b64_e32 v[20:21], s0, v[20:21]
	s_add_nc_u64 s[0:1], s[0:1], 8
	s_delay_alu instid0(VALU_DEP_1) | instskip(NEXT) | instid1(VALU_DEP_2)
	v_or_b32_e32 v17, v21, v17
	v_or_b32_e32 v16, v20, v16
	s_and_not1_b32 exec_lo, exec_lo, s10
	s_cbranch_execnz .LBB9_58
; %bb.59:                               ;   in Loop: Header=BB9_31 Depth=1
	s_or_b32 exec_lo, exec_lo, s10
.LBB9_60:                               ;   in Loop: Header=BB9_31 Depth=1
	s_delay_alu instid0(SALU_CYCLE_1)
	s_or_b32 exec_lo, exec_lo, s5
	v_mov_b32_e32 v8, v9
                                        ; implicit-def: $vgpr18
.LBB9_61:                               ;   in Loop: Header=BB9_31 Depth=1
	s_or_saveexec_b32 s0, s4
	v_mov_b32_e32 v20, 0
	s_xor_b32 exec_lo, exec_lo, s0
	s_cbranch_execz .LBB9_63
; %bb.62:                               ;   in Loop: Header=BB9_31 Depth=1
	scratch_load_b64 v[16:17], v9, off
	v_add_nc_u32_e32 v20, -8, v18
.LBB9_63:                               ;   in Loop: Header=BB9_31 Depth=1
	s_wait_xcnt 0x0
	s_or_b32 exec_lo, exec_lo, s0
	v_add_nc_u32_e32 v9, 8, v8
	s_mov_b32 s0, exec_lo
	v_cmpx_gt_u32_e32 8, v20
	s_xor_b32 s4, exec_lo, s0
	s_cbranch_execz .LBB9_69
; %bb.64:                               ;   in Loop: Header=BB9_31 Depth=1
	v_mov_b64_e32 v[18:19], 0
	s_mov_b32 s5, exec_lo
	v_cmpx_ne_u32_e32 0, v20
	s_cbranch_execz .LBB9_68
; %bb.65:                               ;   in Loop: Header=BB9_31 Depth=1
	v_mov_b64_e32 v[18:19], 0
	s_mov_b64 s[0:1], 0
	s_mov_b32 s10, 0
	s_mov_b32 s11, 0
.LBB9_66:                               ;   Parent Loop BB9_31 Depth=1
                                        ; =>  This Inner Loop Header: Depth=2
	scratch_load_u8 v9, v8, s11
	v_mov_b32_e32 v23, s7
	s_wait_xcnt 0x0
	s_add_co_i32 s11, s11, 1
	s_delay_alu instid0(SALU_CYCLE_1) | instskip(SKIP_3) | instid1(VALU_DEP_1)
	v_cmp_eq_u32_e32 vcc_lo, s11, v20
	s_or_b32 s10, vcc_lo, s10
	s_wait_loadcnt 0x0
	v_and_b32_e32 v22, 0xffff, v9
	v_lshlrev_b64_e32 v[22:23], s0, v[22:23]
	s_add_nc_u64 s[0:1], s[0:1], 8
	s_delay_alu instid0(VALU_DEP_1) | instskip(NEXT) | instid1(VALU_DEP_2)
	v_or_b32_e32 v19, v23, v19
	v_or_b32_e32 v18, v22, v18
	s_and_not1_b32 exec_lo, exec_lo, s10
	s_cbranch_execnz .LBB9_66
; %bb.67:                               ;   in Loop: Header=BB9_31 Depth=1
	s_or_b32 exec_lo, exec_lo, s10
.LBB9_68:                               ;   in Loop: Header=BB9_31 Depth=1
	s_delay_alu instid0(SALU_CYCLE_1)
	s_or_b32 exec_lo, exec_lo, s5
	v_mov_b32_e32 v9, v8
                                        ; implicit-def: $vgpr20
.LBB9_69:                               ;   in Loop: Header=BB9_31 Depth=1
	s_or_saveexec_b32 s0, s4
	v_mov_b32_e32 v22, 0
	s_xor_b32 exec_lo, exec_lo, s0
	s_cbranch_execz .LBB9_71
; %bb.70:                               ;   in Loop: Header=BB9_31 Depth=1
	scratch_load_b64 v[18:19], v8, off
	v_add_nc_u32_e32 v22, -8, v20
.LBB9_71:                               ;   in Loop: Header=BB9_31 Depth=1
	s_wait_xcnt 0x0
	s_or_b32 exec_lo, exec_lo, s0
	v_add_nc_u32_e32 v8, 8, v9
                                        ; implicit-def: $vgpr20_vgpr21
	s_mov_b32 s0, exec_lo
	v_cmpx_gt_u32_e32 8, v22
	s_xor_b32 s4, exec_lo, s0
	s_cbranch_execz .LBB9_77
; %bb.72:                               ;   in Loop: Header=BB9_31 Depth=1
	v_mov_b64_e32 v[20:21], 0
	s_mov_b32 s5, exec_lo
	v_cmpx_ne_u32_e32 0, v22
	s_cbranch_execz .LBB9_76
; %bb.73:                               ;   in Loop: Header=BB9_31 Depth=1
	v_mov_b64_e32 v[20:21], 0
	s_mov_b64 s[0:1], 0
	s_mov_b32 s10, 0
	s_mov_b32 s11, 0
.LBB9_74:                               ;   Parent Loop BB9_31 Depth=1
                                        ; =>  This Inner Loop Header: Depth=2
	scratch_load_u8 v8, v9, s11
	v_mov_b32_e32 v25, s7
	s_wait_xcnt 0x0
	s_add_co_i32 s11, s11, 1
	s_delay_alu instid0(SALU_CYCLE_1) | instskip(SKIP_3) | instid1(VALU_DEP_1)
	v_cmp_eq_u32_e32 vcc_lo, s11, v22
	s_or_b32 s10, vcc_lo, s10
	s_wait_loadcnt 0x0
	v_and_b32_e32 v24, 0xffff, v8
	v_lshlrev_b64_e32 v[24:25], s0, v[24:25]
	s_add_nc_u64 s[0:1], s[0:1], 8
	s_delay_alu instid0(VALU_DEP_1) | instskip(NEXT) | instid1(VALU_DEP_2)
	v_or_b32_e32 v21, v25, v21
	v_or_b32_e32 v20, v24, v20
	s_and_not1_b32 exec_lo, exec_lo, s10
	s_cbranch_execnz .LBB9_74
; %bb.75:                               ;   in Loop: Header=BB9_31 Depth=1
	s_or_b32 exec_lo, exec_lo, s10
.LBB9_76:                               ;   in Loop: Header=BB9_31 Depth=1
	s_delay_alu instid0(SALU_CYCLE_1)
	s_or_b32 exec_lo, exec_lo, s5
	v_mov_b32_e32 v8, v9
                                        ; implicit-def: $vgpr22
.LBB9_77:                               ;   in Loop: Header=BB9_31 Depth=1
	s_or_saveexec_b32 s0, s4
	v_mov_b32_e32 v24, 0
	s_xor_b32 exec_lo, exec_lo, s0
	s_cbranch_execz .LBB9_79
; %bb.78:                               ;   in Loop: Header=BB9_31 Depth=1
	scratch_load_b64 v[20:21], v9, off
	v_add_nc_u32_e32 v24, -8, v22
.LBB9_79:                               ;   in Loop: Header=BB9_31 Depth=1
	s_wait_xcnt 0x0
	s_or_b32 exec_lo, exec_lo, s0
	s_delay_alu instid0(SALU_CYCLE_1) | instskip(NEXT) | instid1(VALU_DEP_1)
	s_mov_b32 s0, exec_lo
	v_cmpx_gt_u32_e32 8, v24
	s_xor_b32 s4, exec_lo, s0
	s_cbranch_execz .LBB9_85
; %bb.80:                               ;   in Loop: Header=BB9_31 Depth=1
	v_mov_b64_e32 v[22:23], 0
	s_mov_b32 s5, exec_lo
	v_cmpx_ne_u32_e32 0, v24
	s_cbranch_execz .LBB9_84
; %bb.81:                               ;   in Loop: Header=BB9_31 Depth=1
	v_mov_b64_e32 v[22:23], 0
	s_mov_b64 s[0:1], 0
	s_mov_b32 s10, 0
.LBB9_82:                               ;   Parent Loop BB9_31 Depth=1
                                        ; =>  This Inner Loop Header: Depth=2
	scratch_load_u8 v9, v8, off
	v_dual_mov_b32 v27, s7 :: v_dual_add_nc_u32 v24, -1, v24
	s_delay_alu instid0(VALU_DEP_1) | instskip(SKIP_3) | instid1(VALU_DEP_1)
	v_cmp_eq_u32_e32 vcc_lo, 0, v24
	s_or_b32 s10, vcc_lo, s10
	s_wait_loadcnt 0x0
	v_and_b32_e32 v26, 0xffff, v9
	v_lshlrev_b64_e32 v[26:27], s0, v[26:27]
	s_wait_xcnt 0x0
	v_add_nc_u32_e32 v8, 1, v8
	s_add_nc_u64 s[0:1], s[0:1], 8
	s_delay_alu instid0(VALU_DEP_2) | instskip(NEXT) | instid1(VALU_DEP_3)
	v_or_b32_e32 v23, v27, v23
	v_or_b32_e32 v22, v26, v22
	s_and_not1_b32 exec_lo, exec_lo, s10
	s_cbranch_execnz .LBB9_82
; %bb.83:                               ;   in Loop: Header=BB9_31 Depth=1
	s_or_b32 exec_lo, exec_lo, s10
.LBB9_84:                               ;   in Loop: Header=BB9_31 Depth=1
	s_delay_alu instid0(SALU_CYCLE_1)
	s_or_b32 exec_lo, exec_lo, s5
                                        ; implicit-def: $vgpr8
.LBB9_85:                               ;   in Loop: Header=BB9_31 Depth=1
	s_and_not1_saveexec_b32 s0, s4
	s_cbranch_execz .LBB9_87
; %bb.86:                               ;   in Loop: Header=BB9_31 Depth=1
	scratch_load_b64 v[22:23], v8, off
.LBB9_87:                               ;   in Loop: Header=BB9_31 Depth=1
	s_wait_xcnt 0x0
	s_or_b32 exec_lo, exec_lo, s0
	v_readfirstlane_b32 s0, v50
	v_mov_b64_e32 v[8:9], 0
	s_delay_alu instid0(VALU_DEP_2)
	v_cmp_eq_u32_e64 s0, s0, v50
	s_and_saveexec_b32 s1, s0
	s_cbranch_execz .LBB9_93
; %bb.88:                               ;   in Loop: Header=BB9_31 Depth=1
	global_load_b64 v[26:27], v29, s[2:3] offset:24 scope:SCOPE_SYS
	s_wait_loadcnt 0x0
	global_inv scope:SCOPE_SYS
	s_clause 0x1
	global_load_b64 v[8:9], v29, s[2:3] offset:40
	global_load_b64 v[24:25], v29, s[2:3]
	s_mov_b32 s4, exec_lo
	s_wait_loadcnt 0x1
	v_and_b32_e32 v8, v8, v26
	v_and_b32_e32 v9, v9, v27
	s_delay_alu instid0(VALU_DEP_1) | instskip(SKIP_1) | instid1(VALU_DEP_1)
	v_mul_u64_e32 v[8:9], 24, v[8:9]
	s_wait_loadcnt 0x0
	v_add_nc_u64_e32 v[8:9], v[24:25], v[8:9]
	global_load_b64 v[24:25], v[8:9], off scope:SCOPE_SYS
	s_wait_xcnt 0x0
	s_wait_loadcnt 0x0
	global_atomic_cmpswap_b64 v[8:9], v29, v[24:27], s[2:3] offset:24 th:TH_ATOMIC_RETURN scope:SCOPE_SYS
	s_wait_loadcnt 0x0
	global_inv scope:SCOPE_SYS
	s_wait_xcnt 0x0
	v_cmpx_ne_u64_e64 v[8:9], v[26:27]
	s_cbranch_execz .LBB9_92
; %bb.89:                               ;   in Loop: Header=BB9_31 Depth=1
	s_mov_b32 s5, 0
.LBB9_90:                               ;   Parent Loop BB9_31 Depth=1
                                        ; =>  This Inner Loop Header: Depth=2
	s_sleep 1
	s_clause 0x1
	global_load_b64 v[24:25], v29, s[2:3] offset:40
	global_load_b64 v[38:39], v29, s[2:3]
	v_mov_b64_e32 v[26:27], v[8:9]
	s_wait_loadcnt 0x1
	s_delay_alu instid0(VALU_DEP_1) | instskip(NEXT) | instid1(VALU_DEP_2)
	v_and_b32_e32 v8, v24, v26
	v_and_b32_e32 v24, v25, v27
	s_wait_loadcnt 0x0
	s_delay_alu instid0(VALU_DEP_2) | instskip(NEXT) | instid1(VALU_DEP_1)
	v_mad_nc_u64_u32 v[8:9], v8, 24, v[38:39]
	v_mad_u32 v9, v24, 24, v9
	global_load_b64 v[24:25], v[8:9], off scope:SCOPE_SYS
	s_wait_xcnt 0x0
	s_wait_loadcnt 0x0
	global_atomic_cmpswap_b64 v[8:9], v29, v[24:27], s[2:3] offset:24 th:TH_ATOMIC_RETURN scope:SCOPE_SYS
	s_wait_loadcnt 0x0
	global_inv scope:SCOPE_SYS
	v_cmp_eq_u64_e32 vcc_lo, v[8:9], v[26:27]
	s_or_b32 s5, vcc_lo, s5
	s_wait_xcnt 0x0
	s_and_not1_b32 exec_lo, exec_lo, s5
	s_cbranch_execnz .LBB9_90
; %bb.91:                               ;   in Loop: Header=BB9_31 Depth=1
	s_or_b32 exec_lo, exec_lo, s5
.LBB9_92:                               ;   in Loop: Header=BB9_31 Depth=1
	s_delay_alu instid0(SALU_CYCLE_1)
	s_or_b32 exec_lo, exec_lo, s4
.LBB9_93:                               ;   in Loop: Header=BB9_31 Depth=1
	s_delay_alu instid0(SALU_CYCLE_1)
	s_or_b32 exec_lo, exec_lo, s1
	s_clause 0x1
	global_load_b64 v[38:39], v29, s[2:3] offset:40
	global_load_b128 v[24:27], v29, s[2:3]
	v_readfirstlane_b32 s4, v8
	v_readfirstlane_b32 s5, v9
	s_mov_b32 s1, exec_lo
	s_wait_loadcnt 0x1
	v_and_b32_e32 v48, s4, v38
	v_and_b32_e32 v49, s5, v39
	s_delay_alu instid0(VALU_DEP_1) | instskip(SKIP_1) | instid1(VALU_DEP_1)
	v_mul_u64_e32 v[8:9], 24, v[48:49]
	s_wait_loadcnt 0x0
	v_add_nc_u64_e32 v[38:39], v[24:25], v[8:9]
	s_wait_xcnt 0x0
	s_and_saveexec_b32 s10, s0
	s_cbranch_execz .LBB9_95
; %bb.94:                               ;   in Loop: Header=BB9_31 Depth=1
	v_dual_mov_b32 v8, s1 :: v_dual_mov_b32 v9, v29
	global_store_b128 v[38:39], v[8:11], off offset:8
.LBB9_95:                               ;   in Loop: Header=BB9_31 Depth=1
	s_wait_xcnt 0x0
	s_or_b32 exec_lo, exec_lo, s10
	v_cmp_gt_u64_e32 vcc_lo, 57, v[34:35]
	v_lshlrev_b64_e32 v[8:9], 12, v[48:49]
	v_and_b32_e32 v2, 0xffffff1f, v2
	v_lshl_add_u32 v48, v36, 2, 28
	v_cndmask_b32_e32 v33, 0, v32, vcc_lo
	s_delay_alu instid0(VALU_DEP_4) | instskip(NEXT) | instid1(VALU_DEP_2)
	v_add_nc_u64_e32 v[8:9], v[26:27], v[8:9]
	v_or_b32_e32 v2, v2, v33
	s_delay_alu instid0(VALU_DEP_2) | instskip(NEXT) | instid1(VALU_DEP_3)
	v_readfirstlane_b32 s10, v8
	v_readfirstlane_b32 s11, v9
	s_delay_alu instid0(VALU_DEP_3)
	v_and_or_b32 v2, 0x1e0, v48, v2
	s_clause 0x3
	global_store_b128 v28, v[2:5], s[10:11]
	global_store_b128 v28, v[12:15], s[10:11] offset:16
	global_store_b128 v28, v[16:19], s[10:11] offset:32
	;; [unrolled: 1-line block ×3, first 2 shown]
	s_wait_xcnt 0x0
	s_and_saveexec_b32 s1, s0
	s_cbranch_execz .LBB9_103
; %bb.96:                               ;   in Loop: Header=BB9_31 Depth=1
	s_clause 0x1
	global_load_b64 v[16:17], v29, s[2:3] offset:32 scope:SCOPE_SYS
	global_load_b64 v[2:3], v29, s[2:3] offset:40
	s_mov_b32 s10, exec_lo
	v_dual_mov_b32 v14, s4 :: v_dual_mov_b32 v15, s5
	s_wait_loadcnt 0x0
	v_and_b32_e32 v3, s5, v3
	v_and_b32_e32 v2, s4, v2
	s_delay_alu instid0(VALU_DEP_1) | instskip(NEXT) | instid1(VALU_DEP_1)
	v_mul_u64_e32 v[2:3], 24, v[2:3]
	v_add_nc_u64_e32 v[12:13], v[24:25], v[2:3]
	global_store_b64 v[12:13], v[16:17], off
	global_wb scope:SCOPE_SYS
	s_wait_storecnt 0x0
	s_wait_xcnt 0x0
	global_atomic_cmpswap_b64 v[4:5], v29, v[14:17], s[2:3] offset:32 th:TH_ATOMIC_RETURN scope:SCOPE_SYS
	s_wait_loadcnt 0x0
	v_cmpx_ne_u64_e64 v[4:5], v[16:17]
	s_cbranch_execz .LBB9_99
; %bb.97:                               ;   in Loop: Header=BB9_31 Depth=1
	s_mov_b32 s11, 0
.LBB9_98:                               ;   Parent Loop BB9_31 Depth=1
                                        ; =>  This Inner Loop Header: Depth=2
	v_dual_mov_b32 v2, s4 :: v_dual_mov_b32 v3, s5
	s_sleep 1
	global_store_b64 v[12:13], v[4:5], off
	global_wb scope:SCOPE_SYS
	s_wait_storecnt 0x0
	s_wait_xcnt 0x0
	global_atomic_cmpswap_b64 v[2:3], v29, v[2:5], s[2:3] offset:32 th:TH_ATOMIC_RETURN scope:SCOPE_SYS
	s_wait_loadcnt 0x0
	v_cmp_eq_u64_e32 vcc_lo, v[2:3], v[4:5]
	v_mov_b64_e32 v[4:5], v[2:3]
	s_or_b32 s11, vcc_lo, s11
	s_delay_alu instid0(SALU_CYCLE_1)
	s_and_not1_b32 exec_lo, exec_lo, s11
	s_cbranch_execnz .LBB9_98
.LBB9_99:                               ;   in Loop: Header=BB9_31 Depth=1
	s_or_b32 exec_lo, exec_lo, s10
	global_load_b64 v[2:3], v29, s[2:3] offset:16
	s_mov_b32 s11, exec_lo
	s_mov_b32 s10, exec_lo
	v_mbcnt_lo_u32_b32 v4, s11, 0
	s_wait_xcnt 0x0
	s_delay_alu instid0(VALU_DEP_1)
	v_cmpx_eq_u32_e32 0, v4
	s_cbranch_execz .LBB9_101
; %bb.100:                              ;   in Loop: Header=BB9_31 Depth=1
	s_bcnt1_i32_b32 s11, s11
	s_delay_alu instid0(SALU_CYCLE_1)
	v_dual_mov_b32 v5, v29 :: v_dual_mov_b32 v4, s11
	global_wb scope:SCOPE_SYS
	s_wait_loadcnt 0x0
	s_wait_storecnt 0x0
	global_atomic_add_u64 v[2:3], v[4:5], off offset:8 scope:SCOPE_SYS
.LBB9_101:                              ;   in Loop: Header=BB9_31 Depth=1
	s_wait_xcnt 0x0
	s_or_b32 exec_lo, exec_lo, s10
	s_wait_loadcnt 0x0
	global_load_b64 v[4:5], v[2:3], off offset:16
	s_wait_loadcnt 0x0
	v_cmp_eq_u64_e32 vcc_lo, 0, v[4:5]
	s_cbranch_vccnz .LBB9_103
; %bb.102:                              ;   in Loop: Header=BB9_31 Depth=1
	global_load_b32 v2, v[2:3], off offset:24
	s_wait_xcnt 0x0
	v_mov_b32_e32 v3, v29
	s_wait_loadcnt 0x0
	v_readfirstlane_b32 s10, v2
	global_wb scope:SCOPE_SYS
	s_wait_storecnt 0x0
	global_store_b64 v[4:5], v[2:3], off scope:SCOPE_SYS
	s_and_b32 m0, s10, 0xffffff
	s_sendmsg sendmsg(MSG_INTERRUPT)
.LBB9_103:                              ;   in Loop: Header=BB9_31 Depth=1
	s_wait_xcnt 0x0
	s_or_b32 exec_lo, exec_lo, s1
	v_add_nc_u64_e32 v[2:3], v[8:9], v[28:29]
	s_branch .LBB9_107
.LBB9_104:                              ;   in Loop: Header=BB9_107 Depth=2
	s_wait_xcnt 0x0
	s_or_b32 exec_lo, exec_lo, s1
	s_delay_alu instid0(VALU_DEP_1)
	v_readfirstlane_b32 s1, v4
	s_cmp_eq_u32 s1, 0
	s_cbranch_scc1 .LBB9_106
; %bb.105:                              ;   in Loop: Header=BB9_107 Depth=2
	s_sleep 1
	s_cbranch_execnz .LBB9_107
	s_branch .LBB9_109
.LBB9_106:                              ;   in Loop: Header=BB9_31 Depth=1
	s_branch .LBB9_109
.LBB9_107:                              ;   Parent Loop BB9_31 Depth=1
                                        ; =>  This Inner Loop Header: Depth=2
	v_mov_b32_e32 v4, 1
	s_and_saveexec_b32 s1, s0
	s_cbranch_execz .LBB9_104
; %bb.108:                              ;   in Loop: Header=BB9_107 Depth=2
	global_load_b32 v4, v[38:39], off offset:20 scope:SCOPE_SYS
	s_wait_loadcnt 0x0
	global_inv scope:SCOPE_SYS
	v_and_b32_e32 v4, 1, v4
	s_branch .LBB9_104
.LBB9_109:                              ;   in Loop: Header=BB9_31 Depth=1
	global_load_b64 v[2:3], v[2:3], off
	s_wait_xcnt 0x0
	s_and_saveexec_b32 s10, s0
	s_cbranch_execz .LBB9_30
; %bb.110:                              ;   in Loop: Header=BB9_31 Depth=1
	s_clause 0x2
	global_load_b64 v[4:5], v29, s[2:3] offset:40
	global_load_b64 v[16:17], v29, s[2:3] offset:24 scope:SCOPE_SYS
	global_load_b64 v[8:9], v29, s[2:3]
	s_wait_loadcnt 0x2
	v_readfirstlane_b32 s12, v4
	v_readfirstlane_b32 s13, v5
	s_add_nc_u64 s[0:1], s[12:13], 1
	s_delay_alu instid0(SALU_CYCLE_1) | instskip(NEXT) | instid1(SALU_CYCLE_1)
	s_add_nc_u64 s[4:5], s[0:1], s[4:5]
	s_cmp_eq_u64 s[4:5], 0
	s_cselect_b32 s1, s1, s5
	s_cselect_b32 s0, s0, s4
	s_delay_alu instid0(SALU_CYCLE_1) | instskip(SKIP_1) | instid1(SALU_CYCLE_1)
	v_dual_mov_b32 v15, s1 :: v_dual_mov_b32 v14, s0
	s_and_b64 s[4:5], s[0:1], s[12:13]
	s_mul_u64 s[4:5], s[4:5], 24
	s_wait_loadcnt 0x0
	v_add_nc_u64_e32 v[4:5], s[4:5], v[8:9]
	global_store_b64 v[4:5], v[16:17], off
	global_wb scope:SCOPE_SYS
	s_wait_storecnt 0x0
	s_wait_xcnt 0x0
	global_atomic_cmpswap_b64 v[14:15], v29, v[14:17], s[2:3] offset:24 th:TH_ATOMIC_RETURN scope:SCOPE_SYS
	s_wait_loadcnt 0x0
	v_cmp_ne_u64_e32 vcc_lo, v[14:15], v[16:17]
	s_and_b32 exec_lo, exec_lo, vcc_lo
	s_cbranch_execz .LBB9_30
; %bb.111:                              ;   in Loop: Header=BB9_31 Depth=1
	s_mov_b32 s4, 0
.LBB9_112:                              ;   Parent Loop BB9_31 Depth=1
                                        ; =>  This Inner Loop Header: Depth=2
	v_dual_mov_b32 v12, s0 :: v_dual_mov_b32 v13, s1
	s_sleep 1
	global_store_b64 v[4:5], v[14:15], off
	global_wb scope:SCOPE_SYS
	s_wait_storecnt 0x0
	s_wait_xcnt 0x0
	global_atomic_cmpswap_b64 v[8:9], v29, v[12:15], s[2:3] offset:24 th:TH_ATOMIC_RETURN scope:SCOPE_SYS
	s_wait_loadcnt 0x0
	v_cmp_eq_u64_e32 vcc_lo, v[8:9], v[14:15]
	v_mov_b64_e32 v[14:15], v[8:9]
	s_or_b32 s4, vcc_lo, s4
	s_delay_alu instid0(SALU_CYCLE_1)
	s_and_not1_b32 exec_lo, exec_lo, s4
	s_cbranch_execnz .LBB9_112
	s_branch .LBB9_30
.LBB9_113:
                                        ; implicit-def: $vgpr2_vgpr3
	s_cbranch_execnz .LBB9_193
.LBB9_114:
	s_get_pc_i64 s[4:5]
	s_add_nc_u64 s[4:5], s[4:5], .str.4@rel64+4
	s_delay_alu instid0(SALU_CYCLE_1)
	s_cmp_lg_u64 s[4:5], 0
	s_cbranch_scc0 .LBB9_221
.LBB9_115:
	v_mov_b64_e32 v[10:11], 0x100000002
	s_get_pc_i64 s[0:1]
	s_add_nc_u64 s[0:1], s[0:1], .str.4@rel64+74
	s_wait_loadcnt 0x0
	v_dual_mov_b32 v9, 0 :: v_dual_bitop2_b32 v32, 2, v2 bitop3:0x40
	v_dual_mov_b32 v5, v3 :: v_dual_bitop2_b32 v4, -3, v2 bitop3:0x40
	s_sub_co_i32 s6, s0, s4
	s_delay_alu instid0(SALU_CYCLE_1)
	s_ashr_i32 s7, s6, 31
	s_branch .LBB9_117
.LBB9_116:                              ;   in Loop: Header=BB9_117 Depth=1
	s_or_b32 exec_lo, exec_lo, s14
	s_sub_nc_u64 s[6:7], s[6:7], s[10:11]
	s_add_nc_u64 s[4:5], s[4:5], s[10:11]
	s_cmp_lg_u64 s[6:7], 0
	s_cbranch_scc0 .LBB9_215
.LBB9_117:                              ; =>This Loop Header: Depth=1
                                        ;     Child Loop BB9_120 Depth 2
                                        ;     Child Loop BB9_127 Depth 2
	;; [unrolled: 1-line block ×11, first 2 shown]
	v_min_u64 v[6:7], s[6:7], 56
	v_cmp_gt_u64_e64 s0, s[6:7], 7
	s_and_b32 vcc_lo, exec_lo, s0
	v_readfirstlane_b32 s10, v6
	v_readfirstlane_b32 s11, v7
	s_cbranch_vccnz .LBB9_122
; %bb.118:                              ;   in Loop: Header=BB9_117 Depth=1
	v_mov_b64_e32 v[6:7], 0
	s_cmp_eq_u64 s[6:7], 0
	s_cbranch_scc1 .LBB9_121
; %bb.119:                              ;   in Loop: Header=BB9_117 Depth=1
	s_mov_b64 s[0:1], 0
	s_mov_b64 s[12:13], 0
.LBB9_120:                              ;   Parent Loop BB9_117 Depth=1
                                        ; =>  This Inner Loop Header: Depth=2
	s_wait_xcnt 0x0
	s_add_nc_u64 s[14:15], s[4:5], s[12:13]
	s_add_nc_u64 s[12:13], s[12:13], 1
	global_load_u8 v1, v9, s[14:15]
	s_cmp_lg_u32 s10, s12
	s_wait_loadcnt 0x0
	v_and_b32_e32 v8, 0xffff, v1
	s_delay_alu instid0(VALU_DEP_1) | instskip(SKIP_1) | instid1(VALU_DEP_1)
	v_lshlrev_b64_e32 v[12:13], s0, v[8:9]
	s_add_nc_u64 s[0:1], s[0:1], 8
	v_or_b32_e32 v6, v12, v6
	s_delay_alu instid0(VALU_DEP_2)
	v_or_b32_e32 v7, v13, v7
	s_cbranch_scc1 .LBB9_120
.LBB9_121:                              ;   in Loop: Header=BB9_117 Depth=1
	s_mov_b64 s[12:13], s[4:5]
	s_mov_b32 s16, 0
	s_cbranch_execz .LBB9_123
	s_branch .LBB9_124
.LBB9_122:                              ;   in Loop: Header=BB9_117 Depth=1
	s_add_nc_u64 s[12:13], s[4:5], 8
	s_mov_b32 s16, 0
.LBB9_123:                              ;   in Loop: Header=BB9_117 Depth=1
	global_load_b64 v[6:7], v9, s[4:5]
	s_add_co_i32 s16, s10, -8
.LBB9_124:                              ;   in Loop: Header=BB9_117 Depth=1
	s_delay_alu instid0(SALU_CYCLE_1)
	s_cmp_gt_u32 s16, 7
	s_cbranch_scc1 .LBB9_129
; %bb.125:                              ;   in Loop: Header=BB9_117 Depth=1
	v_mov_b64_e32 v[12:13], 0
	s_cmp_eq_u32 s16, 0
	s_cbranch_scc1 .LBB9_128
; %bb.126:                              ;   in Loop: Header=BB9_117 Depth=1
	s_mov_b64 s[0:1], 0
	s_wait_xcnt 0x0
	s_mov_b64 s[14:15], 0
.LBB9_127:                              ;   Parent Loop BB9_117 Depth=1
                                        ; =>  This Inner Loop Header: Depth=2
	s_wait_xcnt 0x0
	s_add_nc_u64 s[18:19], s[12:13], s[14:15]
	s_add_nc_u64 s[14:15], s[14:15], 1
	global_load_u8 v1, v9, s[18:19]
	s_cmp_lg_u32 s16, s14
	s_wait_loadcnt 0x0
	v_and_b32_e32 v8, 0xffff, v1
	s_delay_alu instid0(VALU_DEP_1) | instskip(SKIP_1) | instid1(VALU_DEP_1)
	v_lshlrev_b64_e32 v[14:15], s0, v[8:9]
	s_add_nc_u64 s[0:1], s[0:1], 8
	v_or_b32_e32 v12, v14, v12
	s_delay_alu instid0(VALU_DEP_2)
	v_or_b32_e32 v13, v15, v13
	s_cbranch_scc1 .LBB9_127
.LBB9_128:                              ;   in Loop: Header=BB9_117 Depth=1
	s_wait_xcnt 0x0
	s_mov_b64 s[0:1], s[12:13]
	s_mov_b32 s17, 0
	s_cbranch_execz .LBB9_130
	s_branch .LBB9_131
.LBB9_129:                              ;   in Loop: Header=BB9_117 Depth=1
	s_add_nc_u64 s[0:1], s[12:13], 8
	s_wait_xcnt 0x0
                                        ; implicit-def: $vgpr12_vgpr13
	s_mov_b32 s17, 0
.LBB9_130:                              ;   in Loop: Header=BB9_117 Depth=1
	global_load_b64 v[12:13], v9, s[12:13]
	s_add_co_i32 s17, s16, -8
.LBB9_131:                              ;   in Loop: Header=BB9_117 Depth=1
	s_delay_alu instid0(SALU_CYCLE_1)
	s_cmp_gt_u32 s17, 7
	s_cbranch_scc1 .LBB9_136
; %bb.132:                              ;   in Loop: Header=BB9_117 Depth=1
	v_mov_b64_e32 v[14:15], 0
	s_cmp_eq_u32 s17, 0
	s_cbranch_scc1 .LBB9_135
; %bb.133:                              ;   in Loop: Header=BB9_117 Depth=1
	s_wait_xcnt 0x0
	s_mov_b64 s[12:13], 0
	s_mov_b64 s[14:15], 0
.LBB9_134:                              ;   Parent Loop BB9_117 Depth=1
                                        ; =>  This Inner Loop Header: Depth=2
	s_wait_xcnt 0x0
	s_add_nc_u64 s[18:19], s[0:1], s[14:15]
	s_add_nc_u64 s[14:15], s[14:15], 1
	global_load_u8 v1, v9, s[18:19]
	s_cmp_lg_u32 s17, s14
	s_wait_loadcnt 0x0
	v_and_b32_e32 v8, 0xffff, v1
	s_delay_alu instid0(VALU_DEP_1) | instskip(SKIP_1) | instid1(VALU_DEP_1)
	v_lshlrev_b64_e32 v[16:17], s12, v[8:9]
	s_add_nc_u64 s[12:13], s[12:13], 8
	v_or_b32_e32 v14, v16, v14
	s_delay_alu instid0(VALU_DEP_2)
	v_or_b32_e32 v15, v17, v15
	s_cbranch_scc1 .LBB9_134
.LBB9_135:                              ;   in Loop: Header=BB9_117 Depth=1
	s_wait_xcnt 0x0
	s_mov_b64 s[12:13], s[0:1]
	s_mov_b32 s16, 0
	s_cbranch_execz .LBB9_137
	s_branch .LBB9_138
.LBB9_136:                              ;   in Loop: Header=BB9_117 Depth=1
	s_wait_xcnt 0x0
	s_add_nc_u64 s[12:13], s[0:1], 8
	s_mov_b32 s16, 0
.LBB9_137:                              ;   in Loop: Header=BB9_117 Depth=1
	global_load_b64 v[14:15], v9, s[0:1]
	s_add_co_i32 s16, s17, -8
.LBB9_138:                              ;   in Loop: Header=BB9_117 Depth=1
	s_delay_alu instid0(SALU_CYCLE_1)
	s_cmp_gt_u32 s16, 7
	s_cbranch_scc1 .LBB9_143
; %bb.139:                              ;   in Loop: Header=BB9_117 Depth=1
	v_mov_b64_e32 v[16:17], 0
	s_cmp_eq_u32 s16, 0
	s_cbranch_scc1 .LBB9_142
; %bb.140:                              ;   in Loop: Header=BB9_117 Depth=1
	s_wait_xcnt 0x0
	s_mov_b64 s[0:1], 0
	s_mov_b64 s[14:15], 0
.LBB9_141:                              ;   Parent Loop BB9_117 Depth=1
                                        ; =>  This Inner Loop Header: Depth=2
	s_wait_xcnt 0x0
	s_add_nc_u64 s[18:19], s[12:13], s[14:15]
	s_add_nc_u64 s[14:15], s[14:15], 1
	global_load_u8 v1, v9, s[18:19]
	s_cmp_lg_u32 s16, s14
	s_wait_loadcnt 0x0
	v_and_b32_e32 v8, 0xffff, v1
	s_delay_alu instid0(VALU_DEP_1) | instskip(SKIP_1) | instid1(VALU_DEP_1)
	v_lshlrev_b64_e32 v[18:19], s0, v[8:9]
	s_add_nc_u64 s[0:1], s[0:1], 8
	v_or_b32_e32 v16, v18, v16
	s_delay_alu instid0(VALU_DEP_2)
	v_or_b32_e32 v17, v19, v17
	s_cbranch_scc1 .LBB9_141
.LBB9_142:                              ;   in Loop: Header=BB9_117 Depth=1
	s_wait_xcnt 0x0
	s_mov_b64 s[0:1], s[12:13]
	s_mov_b32 s17, 0
	s_cbranch_execz .LBB9_144
	s_branch .LBB9_145
.LBB9_143:                              ;   in Loop: Header=BB9_117 Depth=1
	s_wait_xcnt 0x0
	s_add_nc_u64 s[0:1], s[12:13], 8
                                        ; implicit-def: $vgpr16_vgpr17
	s_mov_b32 s17, 0
.LBB9_144:                              ;   in Loop: Header=BB9_117 Depth=1
	global_load_b64 v[16:17], v9, s[12:13]
	s_add_co_i32 s17, s16, -8
.LBB9_145:                              ;   in Loop: Header=BB9_117 Depth=1
	s_delay_alu instid0(SALU_CYCLE_1)
	s_cmp_gt_u32 s17, 7
	s_cbranch_scc1 .LBB9_150
; %bb.146:                              ;   in Loop: Header=BB9_117 Depth=1
	v_mov_b64_e32 v[18:19], 0
	s_cmp_eq_u32 s17, 0
	s_cbranch_scc1 .LBB9_149
; %bb.147:                              ;   in Loop: Header=BB9_117 Depth=1
	s_wait_xcnt 0x0
	s_mov_b64 s[12:13], 0
	s_mov_b64 s[14:15], 0
.LBB9_148:                              ;   Parent Loop BB9_117 Depth=1
                                        ; =>  This Inner Loop Header: Depth=2
	s_wait_xcnt 0x0
	s_add_nc_u64 s[18:19], s[0:1], s[14:15]
	s_add_nc_u64 s[14:15], s[14:15], 1
	global_load_u8 v1, v9, s[18:19]
	s_cmp_lg_u32 s17, s14
	s_wait_loadcnt 0x0
	v_and_b32_e32 v8, 0xffff, v1
	s_delay_alu instid0(VALU_DEP_1) | instskip(SKIP_1) | instid1(VALU_DEP_1)
	v_lshlrev_b64_e32 v[20:21], s12, v[8:9]
	s_add_nc_u64 s[12:13], s[12:13], 8
	v_or_b32_e32 v18, v20, v18
	s_delay_alu instid0(VALU_DEP_2)
	v_or_b32_e32 v19, v21, v19
	s_cbranch_scc1 .LBB9_148
.LBB9_149:                              ;   in Loop: Header=BB9_117 Depth=1
	s_wait_xcnt 0x0
	s_mov_b64 s[12:13], s[0:1]
	s_mov_b32 s16, 0
	s_cbranch_execz .LBB9_151
	s_branch .LBB9_152
.LBB9_150:                              ;   in Loop: Header=BB9_117 Depth=1
	s_wait_xcnt 0x0
	s_add_nc_u64 s[12:13], s[0:1], 8
	s_mov_b32 s16, 0
.LBB9_151:                              ;   in Loop: Header=BB9_117 Depth=1
	global_load_b64 v[18:19], v9, s[0:1]
	s_add_co_i32 s16, s17, -8
.LBB9_152:                              ;   in Loop: Header=BB9_117 Depth=1
	s_delay_alu instid0(SALU_CYCLE_1)
	s_cmp_gt_u32 s16, 7
	s_cbranch_scc1 .LBB9_157
; %bb.153:                              ;   in Loop: Header=BB9_117 Depth=1
	v_mov_b64_e32 v[20:21], 0
	s_cmp_eq_u32 s16, 0
	s_cbranch_scc1 .LBB9_156
; %bb.154:                              ;   in Loop: Header=BB9_117 Depth=1
	s_wait_xcnt 0x0
	s_mov_b64 s[0:1], 0
	s_mov_b64 s[14:15], 0
.LBB9_155:                              ;   Parent Loop BB9_117 Depth=1
                                        ; =>  This Inner Loop Header: Depth=2
	s_wait_xcnt 0x0
	s_add_nc_u64 s[18:19], s[12:13], s[14:15]
	s_add_nc_u64 s[14:15], s[14:15], 1
	global_load_u8 v1, v9, s[18:19]
	s_cmp_lg_u32 s16, s14
	s_wait_loadcnt 0x0
	v_and_b32_e32 v8, 0xffff, v1
	s_delay_alu instid0(VALU_DEP_1) | instskip(SKIP_1) | instid1(VALU_DEP_1)
	v_lshlrev_b64_e32 v[22:23], s0, v[8:9]
	s_add_nc_u64 s[0:1], s[0:1], 8
	v_or_b32_e32 v20, v22, v20
	s_delay_alu instid0(VALU_DEP_2)
	v_or_b32_e32 v21, v23, v21
	s_cbranch_scc1 .LBB9_155
.LBB9_156:                              ;   in Loop: Header=BB9_117 Depth=1
	s_wait_xcnt 0x0
	s_mov_b64 s[0:1], s[12:13]
	s_mov_b32 s17, 0
	s_cbranch_execz .LBB9_158
	s_branch .LBB9_159
.LBB9_157:                              ;   in Loop: Header=BB9_117 Depth=1
	s_wait_xcnt 0x0
	s_add_nc_u64 s[0:1], s[12:13], 8
                                        ; implicit-def: $vgpr20_vgpr21
	s_mov_b32 s17, 0
.LBB9_158:                              ;   in Loop: Header=BB9_117 Depth=1
	global_load_b64 v[20:21], v9, s[12:13]
	s_add_co_i32 s17, s16, -8
.LBB9_159:                              ;   in Loop: Header=BB9_117 Depth=1
	s_delay_alu instid0(SALU_CYCLE_1)
	s_cmp_gt_u32 s17, 7
	s_cbranch_scc1 .LBB9_164
; %bb.160:                              ;   in Loop: Header=BB9_117 Depth=1
	v_mov_b64_e32 v[22:23], 0
	s_cmp_eq_u32 s17, 0
	s_cbranch_scc1 .LBB9_163
; %bb.161:                              ;   in Loop: Header=BB9_117 Depth=1
	s_wait_xcnt 0x0
	s_mov_b64 s[12:13], 0
	s_mov_b64 s[14:15], s[0:1]
.LBB9_162:                              ;   Parent Loop BB9_117 Depth=1
                                        ; =>  This Inner Loop Header: Depth=2
	global_load_u8 v1, v9, s[14:15]
	s_add_co_i32 s17, s17, -1
	s_wait_xcnt 0x0
	s_add_nc_u64 s[14:15], s[14:15], 1
	s_cmp_lg_u32 s17, 0
	s_wait_loadcnt 0x0
	v_and_b32_e32 v8, 0xffff, v1
	s_delay_alu instid0(VALU_DEP_1) | instskip(SKIP_1) | instid1(VALU_DEP_1)
	v_lshlrev_b64_e32 v[24:25], s12, v[8:9]
	s_add_nc_u64 s[12:13], s[12:13], 8
	v_or_b32_e32 v22, v24, v22
	s_delay_alu instid0(VALU_DEP_2)
	v_or_b32_e32 v23, v25, v23
	s_cbranch_scc1 .LBB9_162
.LBB9_163:                              ;   in Loop: Header=BB9_117 Depth=1
	s_wait_xcnt 0x0
	s_cbranch_execz .LBB9_165
	s_branch .LBB9_166
.LBB9_164:                              ;   in Loop: Header=BB9_117 Depth=1
	s_wait_xcnt 0x0
.LBB9_165:                              ;   in Loop: Header=BB9_117 Depth=1
	global_load_b64 v[22:23], v9, s[0:1]
.LBB9_166:                              ;   in Loop: Header=BB9_117 Depth=1
	s_wait_xcnt 0x0
	v_readfirstlane_b32 s0, v50
	v_mov_b64_e32 v[34:35], 0
	s_delay_alu instid0(VALU_DEP_2)
	v_cmp_eq_u32_e64 s0, s0, v50
	s_and_saveexec_b32 s1, s0
	s_cbranch_execz .LBB9_172
; %bb.167:                              ;   in Loop: Header=BB9_117 Depth=1
	global_load_b64 v[26:27], v9, s[2:3] offset:24 scope:SCOPE_SYS
	s_wait_loadcnt 0x0
	global_inv scope:SCOPE_SYS
	s_clause 0x1
	global_load_b64 v[24:25], v9, s[2:3] offset:40
	global_load_b64 v[34:35], v9, s[2:3]
	s_mov_b32 s12, exec_lo
	s_wait_loadcnt 0x1
	v_and_b32_e32 v24, v24, v26
	v_and_b32_e32 v25, v25, v27
	s_delay_alu instid0(VALU_DEP_1) | instskip(SKIP_1) | instid1(VALU_DEP_1)
	v_mul_u64_e32 v[24:25], 24, v[24:25]
	s_wait_loadcnt 0x0
	v_add_nc_u64_e32 v[24:25], v[34:35], v[24:25]
	global_load_b64 v[24:25], v[24:25], off scope:SCOPE_SYS
	s_wait_xcnt 0x0
	s_wait_loadcnt 0x0
	global_atomic_cmpswap_b64 v[34:35], v9, v[24:27], s[2:3] offset:24 th:TH_ATOMIC_RETURN scope:SCOPE_SYS
	s_wait_loadcnt 0x0
	global_inv scope:SCOPE_SYS
	s_wait_xcnt 0x0
	v_cmpx_ne_u64_e64 v[34:35], v[26:27]
	s_cbranch_execz .LBB9_171
; %bb.168:                              ;   in Loop: Header=BB9_117 Depth=1
	s_mov_b32 s13, 0
.LBB9_169:                              ;   Parent Loop BB9_117 Depth=1
                                        ; =>  This Inner Loop Header: Depth=2
	s_sleep 1
	s_clause 0x1
	global_load_b64 v[24:25], v9, s[2:3] offset:40
	global_load_b64 v[36:37], v9, s[2:3]
	v_mov_b64_e32 v[26:27], v[34:35]
	s_wait_loadcnt 0x1
	s_delay_alu instid0(VALU_DEP_1) | instskip(SKIP_1) | instid1(VALU_DEP_1)
	v_and_b32_e32 v1, v24, v26
	s_wait_loadcnt 0x0
	v_mad_nc_u64_u32 v[34:35], v1, 24, v[36:37]
	s_delay_alu instid0(VALU_DEP_3) | instskip(NEXT) | instid1(VALU_DEP_1)
	v_and_b32_e32 v1, v25, v27
	v_mad_u32 v35, v1, 24, v35
	global_load_b64 v[24:25], v[34:35], off scope:SCOPE_SYS
	s_wait_xcnt 0x0
	s_wait_loadcnt 0x0
	global_atomic_cmpswap_b64 v[34:35], v9, v[24:27], s[2:3] offset:24 th:TH_ATOMIC_RETURN scope:SCOPE_SYS
	s_wait_loadcnt 0x0
	global_inv scope:SCOPE_SYS
	v_cmp_eq_u64_e32 vcc_lo, v[34:35], v[26:27]
	s_or_b32 s13, vcc_lo, s13
	s_wait_xcnt 0x0
	s_and_not1_b32 exec_lo, exec_lo, s13
	s_cbranch_execnz .LBB9_169
; %bb.170:                              ;   in Loop: Header=BB9_117 Depth=1
	s_or_b32 exec_lo, exec_lo, s13
.LBB9_171:                              ;   in Loop: Header=BB9_117 Depth=1
	s_delay_alu instid0(SALU_CYCLE_1)
	s_or_b32 exec_lo, exec_lo, s12
.LBB9_172:                              ;   in Loop: Header=BB9_117 Depth=1
	s_delay_alu instid0(SALU_CYCLE_1)
	s_or_b32 exec_lo, exec_lo, s1
	s_clause 0x1
	global_load_b64 v[36:37], v9, s[2:3] offset:40
	global_load_b128 v[24:27], v9, s[2:3]
	v_readfirstlane_b32 s12, v34
	v_readfirstlane_b32 s13, v35
	s_mov_b32 s1, exec_lo
	s_wait_loadcnt 0x1
	v_and_b32_e32 v36, s12, v36
	v_and_b32_e32 v37, s13, v37
	s_delay_alu instid0(VALU_DEP_1) | instskip(SKIP_1) | instid1(VALU_DEP_1)
	v_mul_u64_e32 v[34:35], 24, v[36:37]
	s_wait_loadcnt 0x0
	v_add_nc_u64_e32 v[34:35], v[24:25], v[34:35]
	s_wait_xcnt 0x0
	s_and_saveexec_b32 s14, s0
	s_cbranch_execz .LBB9_174
; %bb.173:                              ;   in Loop: Header=BB9_117 Depth=1
	v_mov_b32_e32 v8, s1
	global_store_b128 v[34:35], v[8:11], off offset:8
.LBB9_174:                              ;   in Loop: Header=BB9_117 Depth=1
	s_wait_xcnt 0x0
	s_or_b32 exec_lo, exec_lo, s14
	v_cmp_lt_u64_e64 vcc_lo, s[6:7], 57
	v_lshlrev_b64_e32 v[36:37], 12, v[36:37]
	v_and_b32_e32 v4, 0xffffff1f, v4
	s_lshl_b32 s1, s10, 2
	s_delay_alu instid0(SALU_CYCLE_1) | instskip(SKIP_1) | instid1(VALU_DEP_3)
	s_add_co_i32 s1, s1, 28
	v_cndmask_b32_e32 v1, 0, v32, vcc_lo
	v_add_nc_u64_e32 v[26:27], v[26:27], v[36:37]
	s_delay_alu instid0(VALU_DEP_2) | instskip(NEXT) | instid1(VALU_DEP_2)
	v_or_b32_e32 v1, v4, v1
	v_readfirstlane_b32 s14, v26
	s_delay_alu instid0(VALU_DEP_3) | instskip(NEXT) | instid1(VALU_DEP_3)
	v_readfirstlane_b32 s15, v27
	v_and_or_b32 v4, 0x1e0, s1, v1
	s_clause 0x3
	global_store_b128 v28, v[4:7], s[14:15]
	global_store_b128 v28, v[12:15], s[14:15] offset:16
	global_store_b128 v28, v[16:19], s[14:15] offset:32
	;; [unrolled: 1-line block ×3, first 2 shown]
	s_wait_xcnt 0x0
	s_and_saveexec_b32 s1, s0
	s_cbranch_execz .LBB9_182
; %bb.175:                              ;   in Loop: Header=BB9_117 Depth=1
	s_clause 0x1
	global_load_b64 v[16:17], v9, s[2:3] offset:32 scope:SCOPE_SYS
	global_load_b64 v[4:5], v9, s[2:3] offset:40
	s_mov_b32 s14, exec_lo
	v_dual_mov_b32 v14, s12 :: v_dual_mov_b32 v15, s13
	s_wait_loadcnt 0x0
	v_and_b32_e32 v5, s13, v5
	v_and_b32_e32 v4, s12, v4
	s_delay_alu instid0(VALU_DEP_1) | instskip(NEXT) | instid1(VALU_DEP_1)
	v_mul_u64_e32 v[4:5], 24, v[4:5]
	v_add_nc_u64_e32 v[12:13], v[24:25], v[4:5]
	global_store_b64 v[12:13], v[16:17], off
	global_wb scope:SCOPE_SYS
	s_wait_storecnt 0x0
	s_wait_xcnt 0x0
	global_atomic_cmpswap_b64 v[6:7], v9, v[14:17], s[2:3] offset:32 th:TH_ATOMIC_RETURN scope:SCOPE_SYS
	s_wait_loadcnt 0x0
	v_cmpx_ne_u64_e64 v[6:7], v[16:17]
	s_cbranch_execz .LBB9_178
; %bb.176:                              ;   in Loop: Header=BB9_117 Depth=1
	s_mov_b32 s15, 0
.LBB9_177:                              ;   Parent Loop BB9_117 Depth=1
                                        ; =>  This Inner Loop Header: Depth=2
	v_dual_mov_b32 v4, s12 :: v_dual_mov_b32 v5, s13
	s_sleep 1
	global_store_b64 v[12:13], v[6:7], off
	global_wb scope:SCOPE_SYS
	s_wait_storecnt 0x0
	s_wait_xcnt 0x0
	global_atomic_cmpswap_b64 v[4:5], v9, v[4:7], s[2:3] offset:32 th:TH_ATOMIC_RETURN scope:SCOPE_SYS
	s_wait_loadcnt 0x0
	v_cmp_eq_u64_e32 vcc_lo, v[4:5], v[6:7]
	v_mov_b64_e32 v[6:7], v[4:5]
	s_or_b32 s15, vcc_lo, s15
	s_delay_alu instid0(SALU_CYCLE_1)
	s_and_not1_b32 exec_lo, exec_lo, s15
	s_cbranch_execnz .LBB9_177
.LBB9_178:                              ;   in Loop: Header=BB9_117 Depth=1
	s_or_b32 exec_lo, exec_lo, s14
	global_load_b64 v[4:5], v9, s[2:3] offset:16
	s_mov_b32 s15, exec_lo
	s_mov_b32 s14, exec_lo
	v_mbcnt_lo_u32_b32 v1, s15, 0
	s_wait_xcnt 0x0
	s_delay_alu instid0(VALU_DEP_1)
	v_cmpx_eq_u32_e32 0, v1
	s_cbranch_execz .LBB9_180
; %bb.179:                              ;   in Loop: Header=BB9_117 Depth=1
	s_bcnt1_i32_b32 s15, s15
	s_delay_alu instid0(SALU_CYCLE_1)
	v_mov_b32_e32 v8, s15
	global_wb scope:SCOPE_SYS
	s_wait_loadcnt 0x0
	s_wait_storecnt 0x0
	global_atomic_add_u64 v[4:5], v[8:9], off offset:8 scope:SCOPE_SYS
.LBB9_180:                              ;   in Loop: Header=BB9_117 Depth=1
	s_wait_xcnt 0x0
	s_or_b32 exec_lo, exec_lo, s14
	s_wait_loadcnt 0x0
	global_load_b64 v[6:7], v[4:5], off offset:16
	s_wait_loadcnt 0x0
	v_cmp_eq_u64_e32 vcc_lo, 0, v[6:7]
	s_cbranch_vccnz .LBB9_182
; %bb.181:                              ;   in Loop: Header=BB9_117 Depth=1
	global_load_b32 v8, v[4:5], off offset:24
	s_wait_loadcnt 0x0
	v_readfirstlane_b32 s14, v8
	global_wb scope:SCOPE_SYS
	s_wait_storecnt 0x0
	s_wait_xcnt 0x0
	global_store_b64 v[6:7], v[8:9], off scope:SCOPE_SYS
	s_and_b32 m0, s14, 0xffffff
	s_sendmsg sendmsg(MSG_INTERRUPT)
.LBB9_182:                              ;   in Loop: Header=BB9_117 Depth=1
	s_wait_xcnt 0x0
	s_or_b32 exec_lo, exec_lo, s1
	v_mov_b32_e32 v29, v9
	s_delay_alu instid0(VALU_DEP_1)
	v_add_nc_u64_e32 v[4:5], v[26:27], v[28:29]
	s_branch .LBB9_186
.LBB9_183:                              ;   in Loop: Header=BB9_186 Depth=2
	s_wait_xcnt 0x0
	s_or_b32 exec_lo, exec_lo, s1
	s_delay_alu instid0(VALU_DEP_1)
	v_readfirstlane_b32 s1, v1
	s_cmp_eq_u32 s1, 0
	s_cbranch_scc1 .LBB9_185
; %bb.184:                              ;   in Loop: Header=BB9_186 Depth=2
	s_sleep 1
	s_cbranch_execnz .LBB9_186
	s_branch .LBB9_188
.LBB9_185:                              ;   in Loop: Header=BB9_117 Depth=1
	s_branch .LBB9_188
.LBB9_186:                              ;   Parent Loop BB9_117 Depth=1
                                        ; =>  This Inner Loop Header: Depth=2
	v_mov_b32_e32 v1, 1
	s_and_saveexec_b32 s1, s0
	s_cbranch_execz .LBB9_183
; %bb.187:                              ;   in Loop: Header=BB9_186 Depth=2
	global_load_b32 v1, v[34:35], off offset:20 scope:SCOPE_SYS
	s_wait_loadcnt 0x0
	global_inv scope:SCOPE_SYS
	v_and_b32_e32 v1, 1, v1
	s_branch .LBB9_183
.LBB9_188:                              ;   in Loop: Header=BB9_117 Depth=1
	global_load_b64 v[4:5], v[4:5], off
	s_wait_xcnt 0x0
	s_and_saveexec_b32 s14, s0
	s_cbranch_execz .LBB9_116
; %bb.189:                              ;   in Loop: Header=BB9_117 Depth=1
	s_clause 0x2
	global_load_b64 v[6:7], v9, s[2:3] offset:40
	global_load_b64 v[16:17], v9, s[2:3] offset:24 scope:SCOPE_SYS
	global_load_b64 v[12:13], v9, s[2:3]
	s_wait_loadcnt 0x2
	v_readfirstlane_b32 s16, v6
	v_readfirstlane_b32 s17, v7
	s_add_nc_u64 s[0:1], s[16:17], 1
	s_delay_alu instid0(SALU_CYCLE_1) | instskip(NEXT) | instid1(SALU_CYCLE_1)
	s_add_nc_u64 s[12:13], s[0:1], s[12:13]
	s_cmp_eq_u64 s[12:13], 0
	s_cselect_b32 s1, s1, s13
	s_cselect_b32 s0, s0, s12
	s_delay_alu instid0(SALU_CYCLE_1) | instskip(SKIP_1) | instid1(SALU_CYCLE_1)
	v_dual_mov_b32 v15, s1 :: v_dual_mov_b32 v14, s0
	s_and_b64 s[12:13], s[0:1], s[16:17]
	s_mul_u64 s[12:13], s[12:13], 24
	s_wait_loadcnt 0x0
	v_add_nc_u64_e32 v[6:7], s[12:13], v[12:13]
	global_store_b64 v[6:7], v[16:17], off
	global_wb scope:SCOPE_SYS
	s_wait_storecnt 0x0
	s_wait_xcnt 0x0
	global_atomic_cmpswap_b64 v[14:15], v9, v[14:17], s[2:3] offset:24 th:TH_ATOMIC_RETURN scope:SCOPE_SYS
	s_wait_loadcnt 0x0
	v_cmp_ne_u64_e32 vcc_lo, v[14:15], v[16:17]
	s_and_b32 exec_lo, exec_lo, vcc_lo
	s_cbranch_execz .LBB9_116
; %bb.190:                              ;   in Loop: Header=BB9_117 Depth=1
	s_mov_b32 s12, 0
.LBB9_191:                              ;   Parent Loop BB9_117 Depth=1
                                        ; =>  This Inner Loop Header: Depth=2
	v_dual_mov_b32 v12, s0 :: v_dual_mov_b32 v13, s1
	s_sleep 1
	global_store_b64 v[6:7], v[14:15], off
	global_wb scope:SCOPE_SYS
	s_wait_storecnt 0x0
	s_wait_xcnt 0x0
	global_atomic_cmpswap_b64 v[12:13], v9, v[12:15], s[2:3] offset:24 th:TH_ATOMIC_RETURN scope:SCOPE_SYS
	s_wait_loadcnt 0x0
	v_cmp_eq_u64_e32 vcc_lo, v[12:13], v[14:15]
	v_mov_b64_e32 v[14:15], v[12:13]
	s_or_b32 s12, vcc_lo, s12
	s_delay_alu instid0(SALU_CYCLE_1)
	s_and_not1_b32 exec_lo, exec_lo, s12
	s_cbranch_execnz .LBB9_191
	s_branch .LBB9_116
.LBB9_192:
	s_or_b32 exec_lo, exec_lo, s6
	s_branch .LBB9_114
.LBB9_193:
	v_readfirstlane_b32 s0, v50
	v_mov_b64_e32 v[8:9], 0
	s_delay_alu instid0(VALU_DEP_2)
	v_cmp_eq_u32_e64 s0, s0, v50
	s_and_saveexec_b32 s1, s0
	s_cbranch_execz .LBB9_199
; %bb.194:
	v_mov_b32_e32 v1, 0
	s_mov_b32 s4, exec_lo
	global_load_b64 v[4:5], v1, s[2:3] offset:24 scope:SCOPE_SYS
	s_wait_loadcnt 0x0
	global_inv scope:SCOPE_SYS
	s_clause 0x1
	global_load_b64 v[2:3], v1, s[2:3] offset:40
	global_load_b64 v[8:9], v1, s[2:3]
	s_wait_loadcnt 0x1
	v_and_b32_e32 v2, v2, v4
	v_and_b32_e32 v3, v3, v5
	s_delay_alu instid0(VALU_DEP_1) | instskip(SKIP_1) | instid1(VALU_DEP_1)
	v_mul_u64_e32 v[2:3], 24, v[2:3]
	s_wait_loadcnt 0x0
	v_add_nc_u64_e32 v[2:3], v[8:9], v[2:3]
	global_load_b64 v[2:3], v[2:3], off scope:SCOPE_SYS
	s_wait_xcnt 0x0
	s_wait_loadcnt 0x0
	global_atomic_cmpswap_b64 v[8:9], v1, v[2:5], s[2:3] offset:24 th:TH_ATOMIC_RETURN scope:SCOPE_SYS
	s_wait_loadcnt 0x0
	global_inv scope:SCOPE_SYS
	s_wait_xcnt 0x0
	v_cmpx_ne_u64_e64 v[8:9], v[4:5]
	s_cbranch_execz .LBB9_198
; %bb.195:
	s_mov_b32 s5, 0
.LBB9_196:                              ; =>This Inner Loop Header: Depth=1
	s_sleep 1
	s_clause 0x1
	global_load_b64 v[2:3], v1, s[2:3] offset:40
	global_load_b64 v[10:11], v1, s[2:3]
	v_mov_b64_e32 v[4:5], v[8:9]
	s_wait_loadcnt 0x1
	s_delay_alu instid0(VALU_DEP_1) | instskip(SKIP_1) | instid1(VALU_DEP_1)
	v_and_b32_e32 v2, v2, v4
	s_wait_loadcnt 0x0
	v_mad_nc_u64_u32 v[8:9], v2, 24, v[10:11]
	s_delay_alu instid0(VALU_DEP_3) | instskip(NEXT) | instid1(VALU_DEP_1)
	v_and_b32_e32 v2, v3, v5
	v_mad_u32 v9, v2, 24, v9
	global_load_b64 v[2:3], v[8:9], off scope:SCOPE_SYS
	s_wait_xcnt 0x0
	s_wait_loadcnt 0x0
	global_atomic_cmpswap_b64 v[8:9], v1, v[2:5], s[2:3] offset:24 th:TH_ATOMIC_RETURN scope:SCOPE_SYS
	s_wait_loadcnt 0x0
	global_inv scope:SCOPE_SYS
	v_cmp_eq_u64_e32 vcc_lo, v[8:9], v[4:5]
	s_or_b32 s5, vcc_lo, s5
	s_wait_xcnt 0x0
	s_and_not1_b32 exec_lo, exec_lo, s5
	s_cbranch_execnz .LBB9_196
; %bb.197:
	s_or_b32 exec_lo, exec_lo, s5
.LBB9_198:
	s_delay_alu instid0(SALU_CYCLE_1)
	s_or_b32 exec_lo, exec_lo, s4
.LBB9_199:
	s_delay_alu instid0(SALU_CYCLE_1)
	s_or_b32 exec_lo, exec_lo, s1
	v_readfirstlane_b32 s4, v8
	v_mov_b32_e32 v29, 0
	v_readfirstlane_b32 s5, v9
	s_mov_b32 s1, exec_lo
	global_load_b64 v[10:11], v29, s[2:3] offset:40
	s_wait_loadcnt 0x1
	global_load_b128 v[2:5], v29, s[2:3]
	s_wait_loadcnt 0x1
	v_and_b32_e32 v8, s4, v10
	v_and_b32_e32 v9, s5, v11
	s_delay_alu instid0(VALU_DEP_1) | instskip(SKIP_1) | instid1(VALU_DEP_1)
	v_mul_u64_e32 v[10:11], 24, v[8:9]
	s_wait_loadcnt 0x0
	v_add_nc_u64_e32 v[10:11], v[2:3], v[10:11]
	s_wait_xcnt 0x0
	s_and_saveexec_b32 s6, s0
	s_cbranch_execz .LBB9_201
; %bb.200:
	v_mov_b64_e32 v[14:15], 0x100000002
	v_dual_mov_b32 v12, s1 :: v_dual_mov_b32 v13, v29
	global_store_b128 v[10:11], v[12:15], off offset:8
.LBB9_201:
	s_wait_xcnt 0x0
	s_or_b32 exec_lo, exec_lo, s6
	v_lshlrev_b64_e32 v[8:9], 12, v[8:9]
	s_mov_b32 s12, 0
	v_and_or_b32 v6, 0xffffff1f, v6, 32
	s_mov_b32 s14, s12
	s_mov_b32 s15, s12
	;; [unrolled: 1-line block ×3, first 2 shown]
	v_mov_b64_e32 v[16:17], s[14:15]
	v_add_nc_u64_e32 v[12:13], v[4:5], v[8:9]
	v_mov_b64_e32 v[14:15], s[12:13]
	v_dual_mov_b32 v8, v29 :: v_dual_mov_b32 v9, v29
	s_delay_alu instid0(VALU_DEP_3) | instskip(NEXT) | instid1(VALU_DEP_4)
	v_readfirstlane_b32 s6, v12
	v_readfirstlane_b32 s7, v13
	s_clause 0x3
	global_store_b128 v28, v[6:9], s[6:7]
	global_store_b128 v28, v[14:17], s[6:7] offset:16
	global_store_b128 v28, v[14:17], s[6:7] offset:32
	;; [unrolled: 1-line block ×3, first 2 shown]
	s_wait_xcnt 0x0
	s_and_saveexec_b32 s1, s0
	s_cbranch_execz .LBB9_209
; %bb.202:
	v_dual_mov_b32 v1, 0 :: v_dual_mov_b32 v15, s5
	s_mov_b32 s6, exec_lo
	s_clause 0x1
	global_load_b64 v[16:17], v1, s[2:3] offset:32 scope:SCOPE_SYS
	global_load_b64 v[4:5], v1, s[2:3] offset:40
	s_wait_loadcnt 0x0
	v_dual_mov_b32 v14, s4 :: v_dual_bitop2_b32 v5, s5, v5 bitop3:0x40
	v_and_b32_e32 v4, s4, v4
	s_delay_alu instid0(VALU_DEP_1) | instskip(NEXT) | instid1(VALU_DEP_1)
	v_mul_u64_e32 v[4:5], 24, v[4:5]
	v_add_nc_u64_e32 v[6:7], v[2:3], v[4:5]
	global_store_b64 v[6:7], v[16:17], off
	global_wb scope:SCOPE_SYS
	s_wait_storecnt 0x0
	s_wait_xcnt 0x0
	global_atomic_cmpswap_b64 v[4:5], v1, v[14:17], s[2:3] offset:32 th:TH_ATOMIC_RETURN scope:SCOPE_SYS
	s_wait_loadcnt 0x0
	v_cmpx_ne_u64_e64 v[4:5], v[16:17]
	s_cbranch_execz .LBB9_205
; %bb.203:
	s_mov_b32 s7, 0
.LBB9_204:                              ; =>This Inner Loop Header: Depth=1
	v_dual_mov_b32 v2, s4 :: v_dual_mov_b32 v3, s5
	s_sleep 1
	global_store_b64 v[6:7], v[4:5], off
	global_wb scope:SCOPE_SYS
	s_wait_storecnt 0x0
	s_wait_xcnt 0x0
	global_atomic_cmpswap_b64 v[2:3], v1, v[2:5], s[2:3] offset:32 th:TH_ATOMIC_RETURN scope:SCOPE_SYS
	s_wait_loadcnt 0x0
	v_cmp_eq_u64_e32 vcc_lo, v[2:3], v[4:5]
	v_mov_b64_e32 v[4:5], v[2:3]
	s_or_b32 s7, vcc_lo, s7
	s_delay_alu instid0(SALU_CYCLE_1)
	s_and_not1_b32 exec_lo, exec_lo, s7
	s_cbranch_execnz .LBB9_204
.LBB9_205:
	s_or_b32 exec_lo, exec_lo, s6
	v_mov_b32_e32 v5, 0
	s_mov_b32 s7, exec_lo
	s_mov_b32 s6, exec_lo
	v_mbcnt_lo_u32_b32 v1, s7, 0
	global_load_b64 v[2:3], v5, s[2:3] offset:16
	s_wait_xcnt 0x0
	v_cmpx_eq_u32_e32 0, v1
	s_cbranch_execz .LBB9_207
; %bb.206:
	s_bcnt1_i32_b32 s7, s7
	s_delay_alu instid0(SALU_CYCLE_1)
	v_mov_b32_e32 v4, s7
	global_wb scope:SCOPE_SYS
	s_wait_loadcnt 0x0
	s_wait_storecnt 0x0
	global_atomic_add_u64 v[2:3], v[4:5], off offset:8 scope:SCOPE_SYS
.LBB9_207:
	s_wait_xcnt 0x0
	s_or_b32 exec_lo, exec_lo, s6
	s_wait_loadcnt 0x0
	global_load_b64 v[4:5], v[2:3], off offset:16
	s_wait_loadcnt 0x0
	v_cmp_eq_u64_e32 vcc_lo, 0, v[4:5]
	s_cbranch_vccnz .LBB9_209
; %bb.208:
	global_load_b32 v2, v[2:3], off offset:24
	s_wait_xcnt 0x0
	v_mov_b32_e32 v3, 0
	s_wait_loadcnt 0x0
	v_readfirstlane_b32 s6, v2
	global_wb scope:SCOPE_SYS
	s_wait_storecnt 0x0
	global_store_b64 v[4:5], v[2:3], off scope:SCOPE_SYS
	s_and_b32 m0, s6, 0xffffff
	s_sendmsg sendmsg(MSG_INTERRUPT)
.LBB9_209:
	s_wait_xcnt 0x0
	s_or_b32 exec_lo, exec_lo, s1
	v_add_nc_u64_e32 v[2:3], v[12:13], v[28:29]
	s_branch .LBB9_213
.LBB9_210:                              ;   in Loop: Header=BB9_213 Depth=1
	s_wait_xcnt 0x0
	s_or_b32 exec_lo, exec_lo, s1
	s_delay_alu instid0(VALU_DEP_1)
	v_readfirstlane_b32 s1, v1
	s_cmp_eq_u32 s1, 0
	s_cbranch_scc1 .LBB9_212
; %bb.211:                              ;   in Loop: Header=BB9_213 Depth=1
	s_sleep 1
	s_cbranch_execnz .LBB9_213
	s_branch .LBB9_216
.LBB9_212:
	s_branch .LBB9_216
.LBB9_213:                              ; =>This Inner Loop Header: Depth=1
	v_mov_b32_e32 v1, 1
	s_and_saveexec_b32 s1, s0
	s_cbranch_execz .LBB9_210
; %bb.214:                              ;   in Loop: Header=BB9_213 Depth=1
	global_load_b32 v1, v[10:11], off offset:20 scope:SCOPE_SYS
	s_wait_loadcnt 0x0
	global_inv scope:SCOPE_SYS
	v_and_b32_e32 v1, 1, v1
	s_branch .LBB9_210
.LBB9_215:
	s_branch .LBB9_249
.LBB9_216:
	global_load_b64 v[2:3], v[2:3], off
	s_wait_xcnt 0x0
	s_and_saveexec_b32 s6, s0
	s_cbranch_execz .LBB9_220
; %bb.217:
	v_mov_b32_e32 v1, 0
	s_clause 0x2
	global_load_b64 v[4:5], v1, s[2:3] offset:40
	global_load_b64 v[12:13], v1, s[2:3] offset:24 scope:SCOPE_SYS
	global_load_b64 v[6:7], v1, s[2:3]
	s_wait_loadcnt 0x2
	v_readfirstlane_b32 s10, v4
	v_readfirstlane_b32 s11, v5
	s_add_nc_u64 s[0:1], s[10:11], 1
	s_delay_alu instid0(SALU_CYCLE_1) | instskip(NEXT) | instid1(SALU_CYCLE_1)
	s_add_nc_u64 s[4:5], s[0:1], s[4:5]
	s_cmp_eq_u64 s[4:5], 0
	s_cselect_b32 s1, s1, s5
	s_cselect_b32 s0, s0, s4
	v_mov_b32_e32 v11, s1
	s_and_b64 s[4:5], s[0:1], s[10:11]
	v_mov_b32_e32 v10, s0
	s_mul_u64 s[4:5], s[4:5], 24
	s_wait_loadcnt 0x0
	v_add_nc_u64_e32 v[8:9], s[4:5], v[6:7]
	global_store_b64 v[8:9], v[12:13], off
	global_wb scope:SCOPE_SYS
	s_wait_storecnt 0x0
	s_wait_xcnt 0x0
	global_atomic_cmpswap_b64 v[6:7], v1, v[10:13], s[2:3] offset:24 th:TH_ATOMIC_RETURN scope:SCOPE_SYS
	s_wait_loadcnt 0x0
	v_cmp_ne_u64_e32 vcc_lo, v[6:7], v[12:13]
	s_and_b32 exec_lo, exec_lo, vcc_lo
	s_cbranch_execz .LBB9_220
; %bb.218:
	s_mov_b32 s4, 0
.LBB9_219:                              ; =>This Inner Loop Header: Depth=1
	v_dual_mov_b32 v4, s0 :: v_dual_mov_b32 v5, s1
	s_sleep 1
	global_store_b64 v[8:9], v[6:7], off
	global_wb scope:SCOPE_SYS
	s_wait_storecnt 0x0
	s_wait_xcnt 0x0
	global_atomic_cmpswap_b64 v[4:5], v1, v[4:7], s[2:3] offset:24 th:TH_ATOMIC_RETURN scope:SCOPE_SYS
	s_wait_loadcnt 0x0
	v_cmp_eq_u64_e32 vcc_lo, v[4:5], v[6:7]
	v_mov_b64_e32 v[6:7], v[4:5]
	s_or_b32 s4, vcc_lo, s4
	s_delay_alu instid0(SALU_CYCLE_1)
	s_and_not1_b32 exec_lo, exec_lo, s4
	s_cbranch_execnz .LBB9_219
.LBB9_220:
	s_or_b32 exec_lo, exec_lo, s6
	s_get_pc_i64 s[4:5]
	s_add_nc_u64 s[4:5], s[4:5], .str.4@rel64+4
	s_delay_alu instid0(SALU_CYCLE_1)
	s_cmp_lg_u64 s[4:5], 0
	s_cbranch_scc1 .LBB9_115
.LBB9_221:
                                        ; implicit-def: $vgpr4_vgpr5
	s_cbranch_execz .LBB9_249
; %bb.222:
	v_readfirstlane_b32 s0, v50
	s_wait_loadcnt 0x0
	v_mov_b64_e32 v[4:5], 0
	s_delay_alu instid0(VALU_DEP_2)
	v_cmp_eq_u32_e64 s0, s0, v50
	s_and_saveexec_b32 s1, s0
	s_cbranch_execz .LBB9_228
; %bb.223:
	v_mov_b32_e32 v1, 0
	s_mov_b32 s4, exec_lo
	global_load_b64 v[6:7], v1, s[2:3] offset:24 scope:SCOPE_SYS
	s_wait_loadcnt 0x0
	global_inv scope:SCOPE_SYS
	s_clause 0x1
	global_load_b64 v[4:5], v1, s[2:3] offset:40
	global_load_b64 v[8:9], v1, s[2:3]
	s_wait_loadcnt 0x1
	v_and_b32_e32 v4, v4, v6
	v_and_b32_e32 v5, v5, v7
	s_delay_alu instid0(VALU_DEP_1) | instskip(SKIP_1) | instid1(VALU_DEP_1)
	v_mul_u64_e32 v[4:5], 24, v[4:5]
	s_wait_loadcnt 0x0
	v_add_nc_u64_e32 v[4:5], v[8:9], v[4:5]
	global_load_b64 v[4:5], v[4:5], off scope:SCOPE_SYS
	s_wait_xcnt 0x0
	s_wait_loadcnt 0x0
	global_atomic_cmpswap_b64 v[4:5], v1, v[4:7], s[2:3] offset:24 th:TH_ATOMIC_RETURN scope:SCOPE_SYS
	s_wait_loadcnt 0x0
	global_inv scope:SCOPE_SYS
	s_wait_xcnt 0x0
	v_cmpx_ne_u64_e64 v[4:5], v[6:7]
	s_cbranch_execz .LBB9_227
; %bb.224:
	s_mov_b32 s5, 0
.LBB9_225:                              ; =>This Inner Loop Header: Depth=1
	s_sleep 1
	s_clause 0x1
	global_load_b64 v[8:9], v1, s[2:3] offset:40
	global_load_b64 v[10:11], v1, s[2:3]
	v_mov_b64_e32 v[6:7], v[4:5]
	s_wait_loadcnt 0x1
	s_delay_alu instid0(VALU_DEP_1) | instskip(NEXT) | instid1(VALU_DEP_2)
	v_and_b32_e32 v4, v8, v6
	v_and_b32_e32 v8, v9, v7
	s_wait_loadcnt 0x0
	s_delay_alu instid0(VALU_DEP_2) | instskip(NEXT) | instid1(VALU_DEP_1)
	v_mad_nc_u64_u32 v[4:5], v4, 24, v[10:11]
	v_mad_u32 v5, v8, 24, v5
	global_load_b64 v[4:5], v[4:5], off scope:SCOPE_SYS
	s_wait_xcnt 0x0
	s_wait_loadcnt 0x0
	global_atomic_cmpswap_b64 v[4:5], v1, v[4:7], s[2:3] offset:24 th:TH_ATOMIC_RETURN scope:SCOPE_SYS
	s_wait_loadcnt 0x0
	global_inv scope:SCOPE_SYS
	v_cmp_eq_u64_e32 vcc_lo, v[4:5], v[6:7]
	s_or_b32 s5, vcc_lo, s5
	s_wait_xcnt 0x0
	s_and_not1_b32 exec_lo, exec_lo, s5
	s_cbranch_execnz .LBB9_225
; %bb.226:
	s_or_b32 exec_lo, exec_lo, s5
.LBB9_227:
	s_delay_alu instid0(SALU_CYCLE_1)
	s_or_b32 exec_lo, exec_lo, s4
.LBB9_228:
	s_delay_alu instid0(SALU_CYCLE_1)
	s_or_b32 exec_lo, exec_lo, s1
	v_readfirstlane_b32 s4, v4
	v_mov_b32_e32 v29, 0
	v_readfirstlane_b32 s5, v5
	s_mov_b32 s1, exec_lo
	s_clause 0x1
	global_load_b64 v[10:11], v29, s[2:3] offset:40
	global_load_b128 v[6:9], v29, s[2:3]
	s_wait_loadcnt 0x1
	v_and_b32_e32 v4, s4, v10
	v_and_b32_e32 v5, s5, v11
	s_delay_alu instid0(VALU_DEP_1) | instskip(SKIP_1) | instid1(VALU_DEP_1)
	v_mul_u64_e32 v[10:11], 24, v[4:5]
	s_wait_loadcnt 0x0
	v_add_nc_u64_e32 v[10:11], v[6:7], v[10:11]
	s_wait_xcnt 0x0
	s_and_saveexec_b32 s6, s0
	s_cbranch_execz .LBB9_230
; %bb.229:
	v_mov_b64_e32 v[14:15], 0x100000002
	v_dual_mov_b32 v12, s1 :: v_dual_mov_b32 v13, v29
	global_store_b128 v[10:11], v[12:15], off offset:8
.LBB9_230:
	s_wait_xcnt 0x0
	s_or_b32 exec_lo, exec_lo, s6
	v_lshlrev_b64_e32 v[4:5], 12, v[4:5]
	s_mov_b32 s12, 0
	v_and_or_b32 v2, 0xffffff1f, v2, 32
	s_mov_b32 s13, s12
	s_mov_b32 s14, s12
	;; [unrolled: 1-line block ×3, first 2 shown]
	v_mov_b64_e32 v[12:13], s[12:13]
	v_add_nc_u64_e32 v[8:9], v[8:9], v[4:5]
	v_mov_b64_e32 v[14:15], s[14:15]
	v_dual_mov_b32 v4, v29 :: v_dual_mov_b32 v5, v29
	s_delay_alu instid0(VALU_DEP_3) | instskip(NEXT) | instid1(VALU_DEP_4)
	v_readfirstlane_b32 s6, v8
	v_readfirstlane_b32 s7, v9
	s_clause 0x3
	global_store_b128 v28, v[2:5], s[6:7]
	global_store_b128 v28, v[12:15], s[6:7] offset:16
	global_store_b128 v28, v[12:15], s[6:7] offset:32
	;; [unrolled: 1-line block ×3, first 2 shown]
	s_wait_xcnt 0x0
	s_and_saveexec_b32 s1, s0
	s_cbranch_execz .LBB9_238
; %bb.231:
	v_dual_mov_b32 v1, 0 :: v_dual_mov_b32 v13, s5
	s_mov_b32 s6, exec_lo
	s_clause 0x1
	global_load_b64 v[14:15], v1, s[2:3] offset:32 scope:SCOPE_SYS
	global_load_b64 v[2:3], v1, s[2:3] offset:40
	s_wait_loadcnt 0x0
	v_dual_mov_b32 v12, s4 :: v_dual_bitop2_b32 v3, s5, v3 bitop3:0x40
	v_and_b32_e32 v2, s4, v2
	s_delay_alu instid0(VALU_DEP_1) | instskip(NEXT) | instid1(VALU_DEP_1)
	v_mul_u64_e32 v[2:3], 24, v[2:3]
	v_add_nc_u64_e32 v[6:7], v[6:7], v[2:3]
	global_store_b64 v[6:7], v[14:15], off
	global_wb scope:SCOPE_SYS
	s_wait_storecnt 0x0
	s_wait_xcnt 0x0
	global_atomic_cmpswap_b64 v[4:5], v1, v[12:15], s[2:3] offset:32 th:TH_ATOMIC_RETURN scope:SCOPE_SYS
	s_wait_loadcnt 0x0
	v_cmpx_ne_u64_e64 v[4:5], v[14:15]
	s_cbranch_execz .LBB9_234
; %bb.232:
	s_mov_b32 s7, 0
.LBB9_233:                              ; =>This Inner Loop Header: Depth=1
	v_dual_mov_b32 v2, s4 :: v_dual_mov_b32 v3, s5
	s_sleep 1
	global_store_b64 v[6:7], v[4:5], off
	global_wb scope:SCOPE_SYS
	s_wait_storecnt 0x0
	s_wait_xcnt 0x0
	global_atomic_cmpswap_b64 v[2:3], v1, v[2:5], s[2:3] offset:32 th:TH_ATOMIC_RETURN scope:SCOPE_SYS
	s_wait_loadcnt 0x0
	v_cmp_eq_u64_e32 vcc_lo, v[2:3], v[4:5]
	v_mov_b64_e32 v[4:5], v[2:3]
	s_or_b32 s7, vcc_lo, s7
	s_delay_alu instid0(SALU_CYCLE_1)
	s_and_not1_b32 exec_lo, exec_lo, s7
	s_cbranch_execnz .LBB9_233
.LBB9_234:
	s_or_b32 exec_lo, exec_lo, s6
	v_mov_b32_e32 v5, 0
	s_mov_b32 s7, exec_lo
	s_mov_b32 s6, exec_lo
	v_mbcnt_lo_u32_b32 v1, s7, 0
	global_load_b64 v[2:3], v5, s[2:3] offset:16
	s_wait_xcnt 0x0
	v_cmpx_eq_u32_e32 0, v1
	s_cbranch_execz .LBB9_236
; %bb.235:
	s_bcnt1_i32_b32 s7, s7
	s_delay_alu instid0(SALU_CYCLE_1)
	v_mov_b32_e32 v4, s7
	global_wb scope:SCOPE_SYS
	s_wait_loadcnt 0x0
	s_wait_storecnt 0x0
	global_atomic_add_u64 v[2:3], v[4:5], off offset:8 scope:SCOPE_SYS
.LBB9_236:
	s_wait_xcnt 0x0
	s_or_b32 exec_lo, exec_lo, s6
	s_wait_loadcnt 0x0
	global_load_b64 v[4:5], v[2:3], off offset:16
	s_wait_loadcnt 0x0
	v_cmp_eq_u64_e32 vcc_lo, 0, v[4:5]
	s_cbranch_vccnz .LBB9_238
; %bb.237:
	global_load_b32 v2, v[2:3], off offset:24
	s_wait_xcnt 0x0
	v_mov_b32_e32 v3, 0
	s_wait_loadcnt 0x0
	v_readfirstlane_b32 s6, v2
	global_wb scope:SCOPE_SYS
	s_wait_storecnt 0x0
	global_store_b64 v[4:5], v[2:3], off scope:SCOPE_SYS
	s_and_b32 m0, s6, 0xffffff
	s_sendmsg sendmsg(MSG_INTERRUPT)
.LBB9_238:
	s_wait_xcnt 0x0
	s_or_b32 exec_lo, exec_lo, s1
	v_add_nc_u64_e32 v[2:3], v[8:9], v[28:29]
	s_branch .LBB9_242
.LBB9_239:                              ;   in Loop: Header=BB9_242 Depth=1
	s_wait_xcnt 0x0
	s_or_b32 exec_lo, exec_lo, s1
	s_delay_alu instid0(VALU_DEP_1)
	v_readfirstlane_b32 s1, v1
	s_cmp_eq_u32 s1, 0
	s_cbranch_scc1 .LBB9_241
; %bb.240:                              ;   in Loop: Header=BB9_242 Depth=1
	s_sleep 1
	s_cbranch_execnz .LBB9_242
	s_branch .LBB9_244
.LBB9_241:
	s_branch .LBB9_244
.LBB9_242:                              ; =>This Inner Loop Header: Depth=1
	v_mov_b32_e32 v1, 1
	s_and_saveexec_b32 s1, s0
	s_cbranch_execz .LBB9_239
; %bb.243:                              ;   in Loop: Header=BB9_242 Depth=1
	global_load_b32 v1, v[10:11], off offset:20 scope:SCOPE_SYS
	s_wait_loadcnt 0x0
	global_inv scope:SCOPE_SYS
	v_and_b32_e32 v1, 1, v1
	s_branch .LBB9_239
.LBB9_244:
	global_load_b64 v[4:5], v[2:3], off
	s_wait_xcnt 0x0
	s_and_saveexec_b32 s6, s0
	s_cbranch_execz .LBB9_248
; %bb.245:
	v_mov_b32_e32 v1, 0
	s_clause 0x2
	global_load_b64 v[2:3], v1, s[2:3] offset:40
	global_load_b64 v[10:11], v1, s[2:3] offset:24 scope:SCOPE_SYS
	global_load_b64 v[6:7], v1, s[2:3]
	s_wait_loadcnt 0x2
	v_readfirstlane_b32 s10, v2
	v_readfirstlane_b32 s11, v3
	s_add_nc_u64 s[0:1], s[10:11], 1
	s_delay_alu instid0(SALU_CYCLE_1) | instskip(NEXT) | instid1(SALU_CYCLE_1)
	s_add_nc_u64 s[4:5], s[0:1], s[4:5]
	s_cmp_eq_u64 s[4:5], 0
	s_cselect_b32 s1, s1, s5
	s_cselect_b32 s0, s0, s4
	v_mov_b32_e32 v9, s1
	s_and_b64 s[4:5], s[0:1], s[10:11]
	v_mov_b32_e32 v8, s0
	s_mul_u64 s[4:5], s[4:5], 24
	s_wait_loadcnt 0x0
	v_add_nc_u64_e32 v[2:3], s[4:5], v[6:7]
	global_store_b64 v[2:3], v[10:11], off
	global_wb scope:SCOPE_SYS
	s_wait_storecnt 0x0
	s_wait_xcnt 0x0
	global_atomic_cmpswap_b64 v[8:9], v1, v[8:11], s[2:3] offset:24 th:TH_ATOMIC_RETURN scope:SCOPE_SYS
	s_wait_loadcnt 0x0
	v_cmp_ne_u64_e32 vcc_lo, v[8:9], v[10:11]
	s_and_b32 exec_lo, exec_lo, vcc_lo
	s_cbranch_execz .LBB9_248
; %bb.246:
	s_mov_b32 s4, 0
.LBB9_247:                              ; =>This Inner Loop Header: Depth=1
	v_dual_mov_b32 v6, s0 :: v_dual_mov_b32 v7, s1
	s_sleep 1
	global_store_b64 v[2:3], v[8:9], off
	global_wb scope:SCOPE_SYS
	s_wait_storecnt 0x0
	s_wait_xcnt 0x0
	global_atomic_cmpswap_b64 v[6:7], v1, v[6:9], s[2:3] offset:24 th:TH_ATOMIC_RETURN scope:SCOPE_SYS
	s_wait_loadcnt 0x0
	v_cmp_eq_u64_e32 vcc_lo, v[6:7], v[8:9]
	v_mov_b64_e32 v[8:9], v[6:7]
	s_or_b32 s4, vcc_lo, s4
	s_delay_alu instid0(SALU_CYCLE_1)
	s_and_not1_b32 exec_lo, exec_lo, s4
	s_cbranch_execnz .LBB9_247
.LBB9_248:
	s_or_b32 exec_lo, exec_lo, s6
.LBB9_249:
	v_readfirstlane_b32 s0, v50
	s_wait_loadcnt 0x0
	v_mov_b64_e32 v[2:3], 0
	s_delay_alu instid0(VALU_DEP_2)
	v_cmp_eq_u32_e64 s0, s0, v50
	s_and_saveexec_b32 s1, s0
	s_cbranch_execz .LBB9_255
; %bb.250:
	v_mov_b32_e32 v1, 0
	s_mov_b32 s4, exec_lo
	global_load_b64 v[8:9], v1, s[2:3] offset:24 scope:SCOPE_SYS
	s_wait_loadcnt 0x0
	global_inv scope:SCOPE_SYS
	s_clause 0x1
	global_load_b64 v[2:3], v1, s[2:3] offset:40
	global_load_b64 v[6:7], v1, s[2:3]
	s_wait_loadcnt 0x1
	v_and_b32_e32 v2, v2, v8
	v_and_b32_e32 v3, v3, v9
	s_delay_alu instid0(VALU_DEP_1) | instskip(SKIP_1) | instid1(VALU_DEP_1)
	v_mul_u64_e32 v[2:3], 24, v[2:3]
	s_wait_loadcnt 0x0
	v_add_nc_u64_e32 v[2:3], v[6:7], v[2:3]
	global_load_b64 v[6:7], v[2:3], off scope:SCOPE_SYS
	s_wait_xcnt 0x0
	s_wait_loadcnt 0x0
	global_atomic_cmpswap_b64 v[2:3], v1, v[6:9], s[2:3] offset:24 th:TH_ATOMIC_RETURN scope:SCOPE_SYS
	s_wait_loadcnt 0x0
	global_inv scope:SCOPE_SYS
	s_wait_xcnt 0x0
	v_cmpx_ne_u64_e64 v[2:3], v[8:9]
	s_cbranch_execz .LBB9_254
; %bb.251:
	s_mov_b32 s5, 0
.LBB9_252:                              ; =>This Inner Loop Header: Depth=1
	s_sleep 1
	s_clause 0x1
	global_load_b64 v[6:7], v1, s[2:3] offset:40
	global_load_b64 v[10:11], v1, s[2:3]
	v_mov_b64_e32 v[8:9], v[2:3]
	s_wait_loadcnt 0x1
	s_delay_alu instid0(VALU_DEP_1) | instskip(NEXT) | instid1(VALU_DEP_2)
	v_and_b32_e32 v2, v6, v8
	v_and_b32_e32 v6, v7, v9
	s_wait_loadcnt 0x0
	s_delay_alu instid0(VALU_DEP_2) | instskip(NEXT) | instid1(VALU_DEP_1)
	v_mad_nc_u64_u32 v[2:3], v2, 24, v[10:11]
	v_mad_u32 v3, v6, 24, v3
	global_load_b64 v[6:7], v[2:3], off scope:SCOPE_SYS
	s_wait_xcnt 0x0
	s_wait_loadcnt 0x0
	global_atomic_cmpswap_b64 v[2:3], v1, v[6:9], s[2:3] offset:24 th:TH_ATOMIC_RETURN scope:SCOPE_SYS
	s_wait_loadcnt 0x0
	global_inv scope:SCOPE_SYS
	v_cmp_eq_u64_e32 vcc_lo, v[2:3], v[8:9]
	s_or_b32 s5, vcc_lo, s5
	s_wait_xcnt 0x0
	s_and_not1_b32 exec_lo, exec_lo, s5
	s_cbranch_execnz .LBB9_252
; %bb.253:
	s_or_b32 exec_lo, exec_lo, s5
.LBB9_254:
	s_delay_alu instid0(SALU_CYCLE_1)
	s_or_b32 exec_lo, exec_lo, s4
.LBB9_255:
	s_delay_alu instid0(SALU_CYCLE_1)
	s_or_b32 exec_lo, exec_lo, s1
	v_readfirstlane_b32 s4, v2
	v_mov_b32_e32 v29, 0
	v_readfirstlane_b32 s5, v3
	s_mov_b32 s1, exec_lo
	s_clause 0x1
	global_load_b64 v[6:7], v29, s[2:3] offset:40
	global_load_b128 v[8:11], v29, s[2:3]
	s_wait_loadcnt 0x1
	v_and_b32_e32 v2, s4, v6
	v_and_b32_e32 v3, s5, v7
	s_delay_alu instid0(VALU_DEP_1) | instskip(SKIP_1) | instid1(VALU_DEP_1)
	v_mul_u64_e32 v[6:7], 24, v[2:3]
	s_wait_loadcnt 0x0
	v_add_nc_u64_e32 v[12:13], v[8:9], v[6:7]
	s_wait_xcnt 0x0
	s_and_saveexec_b32 s6, s0
	s_cbranch_execz .LBB9_257
; %bb.256:
	v_mov_b64_e32 v[16:17], 0x100000002
	v_dual_mov_b32 v14, s1 :: v_dual_mov_b32 v15, v29
	global_store_b128 v[12:13], v[14:17], off offset:8
.LBB9_257:
	s_wait_xcnt 0x0
	s_or_b32 exec_lo, exec_lo, s6
	v_lshlrev_b64_e32 v[2:3], 12, v[2:3]
	s_mov_b32 s12, 0
	v_dual_mov_b32 v6, v0 :: v_dual_mov_b32 v7, v29
	s_mov_b32 s13, s12
	s_mov_b32 s14, s12
	;; [unrolled: 1-line block ×3, first 2 shown]
	s_delay_alu instid0(VALU_DEP_2) | instskip(SKIP_3) | instid1(VALU_DEP_4)
	v_add_nc_u64_e32 v[10:11], v[10:11], v[2:3]
	v_mov_b64_e32 v[0:1], s[12:13]
	v_mov_b64_e32 v[2:3], s[14:15]
	v_and_or_b32 v4, 0xffffff1f, v4, 32
	v_readfirstlane_b32 s6, v10
	v_readfirstlane_b32 s7, v11
	s_clause 0x3
	global_store_b128 v28, v[4:7], s[6:7]
	global_store_b128 v28, v[0:3], s[6:7] offset:16
	global_store_b128 v28, v[0:3], s[6:7] offset:32
	;; [unrolled: 1-line block ×3, first 2 shown]
	s_wait_xcnt 0x0
	s_and_saveexec_b32 s1, s0
	s_cbranch_execz .LBB9_265
; %bb.258:
	v_dual_mov_b32 v6, 0 :: v_dual_mov_b32 v15, s5
	s_mov_b32 s6, exec_lo
	s_clause 0x1
	global_load_b64 v[16:17], v6, s[2:3] offset:32 scope:SCOPE_SYS
	global_load_b64 v[0:1], v6, s[2:3] offset:40
	s_wait_loadcnt 0x0
	v_dual_mov_b32 v14, s4 :: v_dual_bitop2_b32 v1, s5, v1 bitop3:0x40
	v_and_b32_e32 v0, s4, v0
	s_delay_alu instid0(VALU_DEP_1) | instskip(NEXT) | instid1(VALU_DEP_1)
	v_mul_u64_e32 v[0:1], 24, v[0:1]
	v_add_nc_u64_e32 v[4:5], v[8:9], v[0:1]
	global_store_b64 v[4:5], v[16:17], off
	global_wb scope:SCOPE_SYS
	s_wait_storecnt 0x0
	s_wait_xcnt 0x0
	global_atomic_cmpswap_b64 v[2:3], v6, v[14:17], s[2:3] offset:32 th:TH_ATOMIC_RETURN scope:SCOPE_SYS
	s_wait_loadcnt 0x0
	v_cmpx_ne_u64_e64 v[2:3], v[16:17]
	s_cbranch_execz .LBB9_261
; %bb.259:
	s_mov_b32 s7, 0
.LBB9_260:                              ; =>This Inner Loop Header: Depth=1
	v_dual_mov_b32 v0, s4 :: v_dual_mov_b32 v1, s5
	s_sleep 1
	global_store_b64 v[4:5], v[2:3], off
	global_wb scope:SCOPE_SYS
	s_wait_storecnt 0x0
	s_wait_xcnt 0x0
	global_atomic_cmpswap_b64 v[0:1], v6, v[0:3], s[2:3] offset:32 th:TH_ATOMIC_RETURN scope:SCOPE_SYS
	s_wait_loadcnt 0x0
	v_cmp_eq_u64_e32 vcc_lo, v[0:1], v[2:3]
	v_mov_b64_e32 v[2:3], v[0:1]
	s_or_b32 s7, vcc_lo, s7
	s_delay_alu instid0(SALU_CYCLE_1)
	s_and_not1_b32 exec_lo, exec_lo, s7
	s_cbranch_execnz .LBB9_260
.LBB9_261:
	s_or_b32 exec_lo, exec_lo, s6
	v_mov_b32_e32 v3, 0
	s_mov_b32 s7, exec_lo
	s_mov_b32 s6, exec_lo
	v_mbcnt_lo_u32_b32 v2, s7, 0
	global_load_b64 v[0:1], v3, s[2:3] offset:16
	s_wait_xcnt 0x0
	v_cmpx_eq_u32_e32 0, v2
	s_cbranch_execz .LBB9_263
; %bb.262:
	s_bcnt1_i32_b32 s7, s7
	s_delay_alu instid0(SALU_CYCLE_1)
	v_mov_b32_e32 v2, s7
	global_wb scope:SCOPE_SYS
	s_wait_loadcnt 0x0
	s_wait_storecnt 0x0
	global_atomic_add_u64 v[0:1], v[2:3], off offset:8 scope:SCOPE_SYS
.LBB9_263:
	s_wait_xcnt 0x0
	s_or_b32 exec_lo, exec_lo, s6
	s_wait_loadcnt 0x0
	global_load_b64 v[2:3], v[0:1], off offset:16
	s_wait_loadcnt 0x0
	v_cmp_eq_u64_e32 vcc_lo, 0, v[2:3]
	s_cbranch_vccnz .LBB9_265
; %bb.264:
	global_load_b32 v0, v[0:1], off offset:24
	s_wait_xcnt 0x0
	v_mov_b32_e32 v1, 0
	s_wait_loadcnt 0x0
	v_readfirstlane_b32 s6, v0
	global_wb scope:SCOPE_SYS
	s_wait_storecnt 0x0
	global_store_b64 v[2:3], v[0:1], off scope:SCOPE_SYS
	s_and_b32 m0, s6, 0xffffff
	s_sendmsg sendmsg(MSG_INTERRUPT)
.LBB9_265:
	s_wait_xcnt 0x0
	s_or_b32 exec_lo, exec_lo, s1
	v_add_nc_u64_e32 v[0:1], v[10:11], v[28:29]
	s_branch .LBB9_269
.LBB9_266:                              ;   in Loop: Header=BB9_269 Depth=1
	s_wait_xcnt 0x0
	s_or_b32 exec_lo, exec_lo, s1
	s_delay_alu instid0(VALU_DEP_1)
	v_readfirstlane_b32 s1, v2
	s_cmp_eq_u32 s1, 0
	s_cbranch_scc1 .LBB9_268
; %bb.267:                              ;   in Loop: Header=BB9_269 Depth=1
	s_sleep 1
	s_cbranch_execnz .LBB9_269
	s_branch .LBB9_271
.LBB9_268:
	s_branch .LBB9_271
.LBB9_269:                              ; =>This Inner Loop Header: Depth=1
	v_mov_b32_e32 v2, 1
	s_and_saveexec_b32 s1, s0
	s_cbranch_execz .LBB9_266
; %bb.270:                              ;   in Loop: Header=BB9_269 Depth=1
	global_load_b32 v2, v[12:13], off offset:20 scope:SCOPE_SYS
	s_wait_loadcnt 0x0
	global_inv scope:SCOPE_SYS
	v_and_b32_e32 v2, 1, v2
	s_branch .LBB9_266
.LBB9_271:
	global_load_b64 v[0:1], v[0:1], off
	s_wait_xcnt 0x0
	s_and_saveexec_b32 s6, s0
	s_cbranch_execz .LBB9_275
; %bb.272:
	v_mov_b32_e32 v8, 0
	s_clause 0x2
	global_load_b64 v[2:3], v8, s[2:3] offset:40
	global_load_b64 v[12:13], v8, s[2:3] offset:24 scope:SCOPE_SYS
	global_load_b64 v[4:5], v8, s[2:3]
	s_wait_loadcnt 0x2
	v_readfirstlane_b32 s10, v2
	v_readfirstlane_b32 s11, v3
	s_add_nc_u64 s[0:1], s[10:11], 1
	s_delay_alu instid0(SALU_CYCLE_1) | instskip(NEXT) | instid1(SALU_CYCLE_1)
	s_add_nc_u64 s[4:5], s[0:1], s[4:5]
	s_cmp_eq_u64 s[4:5], 0
	s_cselect_b32 s1, s1, s5
	s_cselect_b32 s0, s0, s4
	v_mov_b32_e32 v11, s1
	s_and_b64 s[4:5], s[0:1], s[10:11]
	v_mov_b32_e32 v10, s0
	s_mul_u64 s[4:5], s[4:5], 24
	s_wait_loadcnt 0x0
	v_add_nc_u64_e32 v[6:7], s[4:5], v[4:5]
	global_store_b64 v[6:7], v[12:13], off
	global_wb scope:SCOPE_SYS
	s_wait_storecnt 0x0
	s_wait_xcnt 0x0
	global_atomic_cmpswap_b64 v[4:5], v8, v[10:13], s[2:3] offset:24 th:TH_ATOMIC_RETURN scope:SCOPE_SYS
	s_wait_loadcnt 0x0
	v_cmp_ne_u64_e32 vcc_lo, v[4:5], v[12:13]
	s_and_b32 exec_lo, exec_lo, vcc_lo
	s_cbranch_execz .LBB9_275
; %bb.273:
	s_mov_b32 s4, 0
.LBB9_274:                              ; =>This Inner Loop Header: Depth=1
	v_dual_mov_b32 v2, s0 :: v_dual_mov_b32 v3, s1
	s_sleep 1
	global_store_b64 v[6:7], v[4:5], off
	global_wb scope:SCOPE_SYS
	s_wait_storecnt 0x0
	s_wait_xcnt 0x0
	global_atomic_cmpswap_b64 v[2:3], v8, v[2:5], s[2:3] offset:24 th:TH_ATOMIC_RETURN scope:SCOPE_SYS
	s_wait_loadcnt 0x0
	v_cmp_eq_u64_e32 vcc_lo, v[2:3], v[4:5]
	v_mov_b64_e32 v[4:5], v[2:3]
	s_or_b32 s4, vcc_lo, s4
	s_delay_alu instid0(SALU_CYCLE_1)
	s_and_not1_b32 exec_lo, exec_lo, s4
	s_cbranch_execnz .LBB9_274
.LBB9_275:
	s_or_b32 exec_lo, exec_lo, s6
	v_mov_b64_e32 v[2:3], v[30:31]
	s_mov_b32 s0, 0
.LBB9_276:                              ; =>This Inner Loop Header: Depth=1
	global_load_u8 v4, v[2:3], off
	s_wait_xcnt 0x0
	v_add_nc_u64_e32 v[2:3], 1, v[2:3]
	s_wait_loadcnt 0x0
	v_cmp_eq_u16_e32 vcc_lo, 0, v4
	s_or_b32 s0, vcc_lo, s0
	s_delay_alu instid0(SALU_CYCLE_1)
	s_and_not1_b32 exec_lo, exec_lo, s0
	s_cbranch_execnz .LBB9_276
; %bb.277:
	s_or_b32 exec_lo, exec_lo, s0
	s_delay_alu instid0(SALU_CYCLE_1)
	s_mov_b32 s0, exec_lo
	v_cmpx_ne_u64_e32 0, v[30:31]
	s_xor_b32 s6, exec_lo, s0
	s_cbranch_execz .LBB9_363
; %bb.278:
	v_dual_sub_nc_u32 v24, v2, v30 :: v_dual_bitop2_b32 v26, 2, v0 bitop3:0x40
	v_mov_b64_e32 v[6:7], 0x100000002
	v_dual_mov_b32 v29, 0 :: v_dual_bitop2_b32 v0, -3, v0 bitop3:0x40
	s_delay_alu instid0(VALU_DEP_3)
	v_ashrrev_i32_e32 v25, 31, v24
	s_mov_b32 s10, 0
	s_mov_b32 s7, 0
	s_branch .LBB9_280
.LBB9_279:                              ;   in Loop: Header=BB9_280 Depth=1
	s_or_b32 exec_lo, exec_lo, s11
	v_sub_nc_u64_e32 v[24:25], v[24:25], v[32:33]
	v_add_nc_u64_e32 v[30:31], v[30:31], v[32:33]
	s_delay_alu instid0(VALU_DEP_2) | instskip(SKIP_1) | instid1(SALU_CYCLE_1)
	v_cmp_eq_u64_e32 vcc_lo, 0, v[24:25]
	s_or_b32 s7, vcc_lo, s7
	s_and_not1_b32 exec_lo, exec_lo, s7
	s_cbranch_execz .LBB9_362
.LBB9_280:                              ; =>This Loop Header: Depth=1
                                        ;     Child Loop BB9_283 Depth 2
                                        ;     Child Loop BB9_291 Depth 2
                                        ;     Child Loop BB9_299 Depth 2
                                        ;     Child Loop BB9_307 Depth 2
                                        ;     Child Loop BB9_315 Depth 2
                                        ;     Child Loop BB9_323 Depth 2
                                        ;     Child Loop BB9_331 Depth 2
                                        ;     Child Loop BB9_339 Depth 2
                                        ;     Child Loop BB9_347 Depth 2
                                        ;     Child Loop BB9_356 Depth 2
                                        ;     Child Loop BB9_361 Depth 2
	s_delay_alu instid0(VALU_DEP_1) | instskip(NEXT) | instid1(VALU_DEP_3)
	v_min_u64 v[32:33], v[24:25], 56
	v_add_nc_u64_e32 v[10:11], 8, v[30:31]
	s_mov_b32 s0, exec_lo
	v_cmpx_gt_u64_e32 8, v[24:25]
	s_xor_b32 s4, exec_lo, s0
	s_cbranch_execz .LBB9_286
; %bb.281:                              ;   in Loop: Header=BB9_280 Depth=1
	v_mov_b64_e32 v[2:3], 0
	s_mov_b32 s5, exec_lo
	v_cmpx_ne_u64_e32 0, v[24:25]
	s_cbranch_execz .LBB9_285
; %bb.282:                              ;   in Loop: Header=BB9_280 Depth=1
	v_mov_b64_e32 v[2:3], 0
	v_mov_b64_e32 v[8:9], v[30:31]
	v_lshlrev_b32_e32 v4, 3, v32
	s_mov_b64 s[0:1], 0
	s_mov_b32 s11, 0
.LBB9_283:                              ;   Parent Loop BB9_280 Depth=1
                                        ; =>  This Inner Loop Header: Depth=2
	global_load_u8 v5, v[8:9], off
	v_mov_b32_e32 v11, s10
	s_wait_xcnt 0x0
	v_add_nc_u64_e32 v[8:9], 1, v[8:9]
	s_wait_loadcnt 0x0
	v_and_b32_e32 v10, 0xffff, v5
	s_delay_alu instid0(VALU_DEP_1) | instskip(SKIP_1) | instid1(SALU_CYCLE_1)
	v_lshlrev_b64_e32 v[10:11], s0, v[10:11]
	s_add_nc_u64 s[0:1], s[0:1], 8
	v_cmp_eq_u32_e32 vcc_lo, s0, v4
	s_delay_alu instid0(VALU_DEP_2) | instskip(NEXT) | instid1(VALU_DEP_3)
	v_or_b32_e32 v3, v11, v3
	v_or_b32_e32 v2, v10, v2
	s_or_b32 s11, vcc_lo, s11
	s_delay_alu instid0(SALU_CYCLE_1)
	s_and_not1_b32 exec_lo, exec_lo, s11
	s_cbranch_execnz .LBB9_283
; %bb.284:                              ;   in Loop: Header=BB9_280 Depth=1
	s_or_b32 exec_lo, exec_lo, s11
.LBB9_285:                              ;   in Loop: Header=BB9_280 Depth=1
	s_delay_alu instid0(SALU_CYCLE_1)
	s_or_b32 exec_lo, exec_lo, s5
	v_mov_b64_e32 v[10:11], v[30:31]
.LBB9_286:                              ;   in Loop: Header=BB9_280 Depth=1
	s_or_saveexec_b32 s0, s4
	v_mov_b32_e32 v12, 0
	s_xor_b32 exec_lo, exec_lo, s0
	s_cbranch_execz .LBB9_288
; %bb.287:                              ;   in Loop: Header=BB9_280 Depth=1
	global_load_b64 v[2:3], v[30:31], off
	v_add_nc_u32_e32 v12, -8, v32
.LBB9_288:                              ;   in Loop: Header=BB9_280 Depth=1
	s_wait_xcnt 0x0
	s_or_b32 exec_lo, exec_lo, s0
	v_add_nc_u64_e32 v[4:5], 8, v[10:11]
                                        ; implicit-def: $vgpr8_vgpr9
	s_mov_b32 s0, exec_lo
	v_cmpx_gt_u32_e32 8, v12
	s_xor_b32 s11, exec_lo, s0
	s_cbranch_execz .LBB9_294
; %bb.289:                              ;   in Loop: Header=BB9_280 Depth=1
	v_mov_b64_e32 v[8:9], 0
	s_mov_b32 s12, exec_lo
	v_cmpx_ne_u32_e32 0, v12
	s_cbranch_execz .LBB9_293
; %bb.290:                              ;   in Loop: Header=BB9_280 Depth=1
	v_mov_b64_e32 v[8:9], 0
	s_mov_b64 s[0:1], 0
	s_mov_b32 s13, 0
	s_mov_b64 s[4:5], 0
.LBB9_291:                              ;   Parent Loop BB9_280 Depth=1
                                        ; =>  This Inner Loop Header: Depth=2
	s_delay_alu instid0(SALU_CYCLE_1) | instskip(SKIP_1) | instid1(SALU_CYCLE_1)
	v_add_nc_u64_e32 v[4:5], s[4:5], v[10:11]
	s_add_nc_u64 s[4:5], s[4:5], 1
	v_cmp_eq_u32_e32 vcc_lo, s4, v12
	global_load_u8 v4, v[4:5], off
	s_wait_xcnt 0x0
	v_mov_b32_e32 v5, s10
	s_or_b32 s13, vcc_lo, s13
	s_wait_loadcnt 0x0
	v_and_b32_e32 v4, 0xffff, v4
	s_delay_alu instid0(VALU_DEP_1) | instskip(SKIP_1) | instid1(VALU_DEP_1)
	v_lshlrev_b64_e32 v[4:5], s0, v[4:5]
	s_add_nc_u64 s[0:1], s[0:1], 8
	v_or_b32_e32 v9, v5, v9
	s_delay_alu instid0(VALU_DEP_2)
	v_or_b32_e32 v8, v4, v8
	s_and_not1_b32 exec_lo, exec_lo, s13
	s_cbranch_execnz .LBB9_291
; %bb.292:                              ;   in Loop: Header=BB9_280 Depth=1
	s_or_b32 exec_lo, exec_lo, s13
.LBB9_293:                              ;   in Loop: Header=BB9_280 Depth=1
	s_delay_alu instid0(SALU_CYCLE_1)
	s_or_b32 exec_lo, exec_lo, s12
	v_mov_b64_e32 v[4:5], v[10:11]
                                        ; implicit-def: $vgpr12
.LBB9_294:                              ;   in Loop: Header=BB9_280 Depth=1
	s_or_saveexec_b32 s0, s11
	v_mov_b32_e32 v13, 0
	s_xor_b32 exec_lo, exec_lo, s0
	s_cbranch_execz .LBB9_296
; %bb.295:                              ;   in Loop: Header=BB9_280 Depth=1
	global_load_b64 v[8:9], v[10:11], off
	v_add_nc_u32_e32 v13, -8, v12
.LBB9_296:                              ;   in Loop: Header=BB9_280 Depth=1
	s_wait_xcnt 0x0
	s_or_b32 exec_lo, exec_lo, s0
	v_add_nc_u64_e32 v[14:15], 8, v[4:5]
	s_mov_b32 s0, exec_lo
	v_cmpx_gt_u32_e32 8, v13
	s_xor_b32 s11, exec_lo, s0
	s_cbranch_execz .LBB9_302
; %bb.297:                              ;   in Loop: Header=BB9_280 Depth=1
	v_mov_b64_e32 v[10:11], 0
	s_mov_b32 s12, exec_lo
	v_cmpx_ne_u32_e32 0, v13
	s_cbranch_execz .LBB9_301
; %bb.298:                              ;   in Loop: Header=BB9_280 Depth=1
	v_mov_b64_e32 v[10:11], 0
	s_mov_b64 s[0:1], 0
	s_mov_b32 s13, 0
	s_mov_b64 s[4:5], 0
.LBB9_299:                              ;   Parent Loop BB9_280 Depth=1
                                        ; =>  This Inner Loop Header: Depth=2
	s_delay_alu instid0(SALU_CYCLE_1) | instskip(SKIP_1) | instid1(SALU_CYCLE_1)
	v_add_nc_u64_e32 v[14:15], s[4:5], v[4:5]
	s_add_nc_u64 s[4:5], s[4:5], 1
	v_cmp_eq_u32_e32 vcc_lo, s4, v13
	global_load_u8 v12, v[14:15], off
	s_wait_xcnt 0x0
	v_mov_b32_e32 v15, s10
	s_or_b32 s13, vcc_lo, s13
	s_wait_loadcnt 0x0
	v_and_b32_e32 v14, 0xffff, v12
	s_delay_alu instid0(VALU_DEP_1) | instskip(SKIP_1) | instid1(VALU_DEP_1)
	v_lshlrev_b64_e32 v[14:15], s0, v[14:15]
	s_add_nc_u64 s[0:1], s[0:1], 8
	v_or_b32_e32 v11, v15, v11
	s_delay_alu instid0(VALU_DEP_2)
	v_or_b32_e32 v10, v14, v10
	s_and_not1_b32 exec_lo, exec_lo, s13
	s_cbranch_execnz .LBB9_299
; %bb.300:                              ;   in Loop: Header=BB9_280 Depth=1
	s_or_b32 exec_lo, exec_lo, s13
.LBB9_301:                              ;   in Loop: Header=BB9_280 Depth=1
	s_delay_alu instid0(SALU_CYCLE_1)
	s_or_b32 exec_lo, exec_lo, s12
	v_mov_b64_e32 v[14:15], v[4:5]
                                        ; implicit-def: $vgpr13
.LBB9_302:                              ;   in Loop: Header=BB9_280 Depth=1
	s_or_saveexec_b32 s0, s11
	v_mov_b32_e32 v16, 0
	s_xor_b32 exec_lo, exec_lo, s0
	s_cbranch_execz .LBB9_304
; %bb.303:                              ;   in Loop: Header=BB9_280 Depth=1
	global_load_b64 v[10:11], v[4:5], off
	v_add_nc_u32_e32 v16, -8, v13
.LBB9_304:                              ;   in Loop: Header=BB9_280 Depth=1
	s_wait_xcnt 0x0
	s_or_b32 exec_lo, exec_lo, s0
	v_add_nc_u64_e32 v[4:5], 8, v[14:15]
                                        ; implicit-def: $vgpr12_vgpr13
	s_mov_b32 s0, exec_lo
	v_cmpx_gt_u32_e32 8, v16
	s_xor_b32 s11, exec_lo, s0
	s_cbranch_execz .LBB9_310
; %bb.305:                              ;   in Loop: Header=BB9_280 Depth=1
	v_mov_b64_e32 v[12:13], 0
	s_mov_b32 s12, exec_lo
	v_cmpx_ne_u32_e32 0, v16
	s_cbranch_execz .LBB9_309
; %bb.306:                              ;   in Loop: Header=BB9_280 Depth=1
	v_mov_b64_e32 v[12:13], 0
	s_mov_b64 s[0:1], 0
	s_mov_b32 s13, 0
	s_mov_b64 s[4:5], 0
.LBB9_307:                              ;   Parent Loop BB9_280 Depth=1
                                        ; =>  This Inner Loop Header: Depth=2
	s_delay_alu instid0(SALU_CYCLE_1) | instskip(SKIP_1) | instid1(SALU_CYCLE_1)
	v_add_nc_u64_e32 v[4:5], s[4:5], v[14:15]
	s_add_nc_u64 s[4:5], s[4:5], 1
	v_cmp_eq_u32_e32 vcc_lo, s4, v16
	global_load_u8 v4, v[4:5], off
	s_wait_xcnt 0x0
	v_mov_b32_e32 v5, s10
	s_or_b32 s13, vcc_lo, s13
	s_wait_loadcnt 0x0
	v_and_b32_e32 v4, 0xffff, v4
	s_delay_alu instid0(VALU_DEP_1) | instskip(SKIP_1) | instid1(VALU_DEP_1)
	v_lshlrev_b64_e32 v[4:5], s0, v[4:5]
	s_add_nc_u64 s[0:1], s[0:1], 8
	v_or_b32_e32 v13, v5, v13
	s_delay_alu instid0(VALU_DEP_2)
	v_or_b32_e32 v12, v4, v12
	s_and_not1_b32 exec_lo, exec_lo, s13
	s_cbranch_execnz .LBB9_307
; %bb.308:                              ;   in Loop: Header=BB9_280 Depth=1
	s_or_b32 exec_lo, exec_lo, s13
.LBB9_309:                              ;   in Loop: Header=BB9_280 Depth=1
	s_delay_alu instid0(SALU_CYCLE_1)
	s_or_b32 exec_lo, exec_lo, s12
	v_mov_b64_e32 v[4:5], v[14:15]
                                        ; implicit-def: $vgpr16
.LBB9_310:                              ;   in Loop: Header=BB9_280 Depth=1
	s_or_saveexec_b32 s0, s11
	v_mov_b32_e32 v17, 0
	s_xor_b32 exec_lo, exec_lo, s0
	s_cbranch_execz .LBB9_312
; %bb.311:                              ;   in Loop: Header=BB9_280 Depth=1
	global_load_b64 v[12:13], v[14:15], off
	v_add_nc_u32_e32 v17, -8, v16
.LBB9_312:                              ;   in Loop: Header=BB9_280 Depth=1
	s_wait_xcnt 0x0
	s_or_b32 exec_lo, exec_lo, s0
	v_add_nc_u64_e32 v[18:19], 8, v[4:5]
	s_mov_b32 s0, exec_lo
	v_cmpx_gt_u32_e32 8, v17
	s_xor_b32 s11, exec_lo, s0
	s_cbranch_execz .LBB9_318
; %bb.313:                              ;   in Loop: Header=BB9_280 Depth=1
	v_mov_b64_e32 v[14:15], 0
	s_mov_b32 s12, exec_lo
	v_cmpx_ne_u32_e32 0, v17
	s_cbranch_execz .LBB9_317
; %bb.314:                              ;   in Loop: Header=BB9_280 Depth=1
	v_mov_b64_e32 v[14:15], 0
	s_mov_b64 s[0:1], 0
	s_mov_b32 s13, 0
	s_mov_b64 s[4:5], 0
.LBB9_315:                              ;   Parent Loop BB9_280 Depth=1
                                        ; =>  This Inner Loop Header: Depth=2
	s_delay_alu instid0(SALU_CYCLE_1) | instskip(SKIP_1) | instid1(SALU_CYCLE_1)
	v_add_nc_u64_e32 v[18:19], s[4:5], v[4:5]
	s_add_nc_u64 s[4:5], s[4:5], 1
	v_cmp_eq_u32_e32 vcc_lo, s4, v17
	global_load_u8 v16, v[18:19], off
	s_wait_xcnt 0x0
	v_mov_b32_e32 v19, s10
	s_or_b32 s13, vcc_lo, s13
	s_wait_loadcnt 0x0
	v_and_b32_e32 v18, 0xffff, v16
	s_delay_alu instid0(VALU_DEP_1) | instskip(SKIP_1) | instid1(VALU_DEP_1)
	v_lshlrev_b64_e32 v[18:19], s0, v[18:19]
	s_add_nc_u64 s[0:1], s[0:1], 8
	v_or_b32_e32 v15, v19, v15
	s_delay_alu instid0(VALU_DEP_2)
	v_or_b32_e32 v14, v18, v14
	s_and_not1_b32 exec_lo, exec_lo, s13
	s_cbranch_execnz .LBB9_315
; %bb.316:                              ;   in Loop: Header=BB9_280 Depth=1
	s_or_b32 exec_lo, exec_lo, s13
.LBB9_317:                              ;   in Loop: Header=BB9_280 Depth=1
	s_delay_alu instid0(SALU_CYCLE_1)
	s_or_b32 exec_lo, exec_lo, s12
	v_mov_b64_e32 v[18:19], v[4:5]
                                        ; implicit-def: $vgpr17
.LBB9_318:                              ;   in Loop: Header=BB9_280 Depth=1
	s_or_saveexec_b32 s0, s11
	v_mov_b32_e32 v20, 0
	s_xor_b32 exec_lo, exec_lo, s0
	s_cbranch_execz .LBB9_320
; %bb.319:                              ;   in Loop: Header=BB9_280 Depth=1
	global_load_b64 v[14:15], v[4:5], off
	v_add_nc_u32_e32 v20, -8, v17
.LBB9_320:                              ;   in Loop: Header=BB9_280 Depth=1
	s_wait_xcnt 0x0
	s_or_b32 exec_lo, exec_lo, s0
	v_add_nc_u64_e32 v[4:5], 8, v[18:19]
                                        ; implicit-def: $vgpr16_vgpr17
	s_mov_b32 s0, exec_lo
	v_cmpx_gt_u32_e32 8, v20
	s_xor_b32 s11, exec_lo, s0
	s_cbranch_execz .LBB9_326
; %bb.321:                              ;   in Loop: Header=BB9_280 Depth=1
	v_mov_b64_e32 v[16:17], 0
	s_mov_b32 s12, exec_lo
	v_cmpx_ne_u32_e32 0, v20
	s_cbranch_execz .LBB9_325
; %bb.322:                              ;   in Loop: Header=BB9_280 Depth=1
	v_mov_b64_e32 v[16:17], 0
	s_mov_b64 s[0:1], 0
	s_mov_b32 s13, 0
	s_mov_b64 s[4:5], 0
.LBB9_323:                              ;   Parent Loop BB9_280 Depth=1
                                        ; =>  This Inner Loop Header: Depth=2
	s_delay_alu instid0(SALU_CYCLE_1) | instskip(SKIP_1) | instid1(SALU_CYCLE_1)
	v_add_nc_u64_e32 v[4:5], s[4:5], v[18:19]
	s_add_nc_u64 s[4:5], s[4:5], 1
	v_cmp_eq_u32_e32 vcc_lo, s4, v20
	global_load_u8 v4, v[4:5], off
	s_wait_xcnt 0x0
	v_mov_b32_e32 v5, s10
	s_or_b32 s13, vcc_lo, s13
	s_wait_loadcnt 0x0
	v_and_b32_e32 v4, 0xffff, v4
	s_delay_alu instid0(VALU_DEP_1) | instskip(SKIP_1) | instid1(VALU_DEP_1)
	v_lshlrev_b64_e32 v[4:5], s0, v[4:5]
	s_add_nc_u64 s[0:1], s[0:1], 8
	v_or_b32_e32 v17, v5, v17
	s_delay_alu instid0(VALU_DEP_2)
	v_or_b32_e32 v16, v4, v16
	s_and_not1_b32 exec_lo, exec_lo, s13
	s_cbranch_execnz .LBB9_323
; %bb.324:                              ;   in Loop: Header=BB9_280 Depth=1
	s_or_b32 exec_lo, exec_lo, s13
.LBB9_325:                              ;   in Loop: Header=BB9_280 Depth=1
	s_delay_alu instid0(SALU_CYCLE_1)
	s_or_b32 exec_lo, exec_lo, s12
	v_mov_b64_e32 v[4:5], v[18:19]
                                        ; implicit-def: $vgpr20
.LBB9_326:                              ;   in Loop: Header=BB9_280 Depth=1
	s_or_saveexec_b32 s0, s11
	v_mov_b32_e32 v21, 0
	s_xor_b32 exec_lo, exec_lo, s0
	s_cbranch_execz .LBB9_328
; %bb.327:                              ;   in Loop: Header=BB9_280 Depth=1
	global_load_b64 v[16:17], v[18:19], off
	v_add_nc_u32_e32 v21, -8, v20
.LBB9_328:                              ;   in Loop: Header=BB9_280 Depth=1
	s_wait_xcnt 0x0
	s_or_b32 exec_lo, exec_lo, s0
	s_delay_alu instid0(SALU_CYCLE_1) | instskip(NEXT) | instid1(VALU_DEP_1)
	s_mov_b32 s0, exec_lo
	v_cmpx_gt_u32_e32 8, v21
	s_xor_b32 s4, exec_lo, s0
	s_cbranch_execz .LBB9_334
; %bb.329:                              ;   in Loop: Header=BB9_280 Depth=1
	v_mov_b64_e32 v[18:19], 0
	s_mov_b32 s5, exec_lo
	v_cmpx_ne_u32_e32 0, v21
	s_cbranch_execz .LBB9_333
; %bb.330:                              ;   in Loop: Header=BB9_280 Depth=1
	v_mov_b64_e32 v[18:19], 0
	s_mov_b64 s[0:1], 0
	s_mov_b32 s11, 0
.LBB9_331:                              ;   Parent Loop BB9_280 Depth=1
                                        ; =>  This Inner Loop Header: Depth=2
	global_load_u8 v20, v[4:5], off
	v_dual_mov_b32 v23, s10 :: v_dual_add_nc_u32 v21, -1, v21
	s_wait_xcnt 0x0
	v_add_nc_u64_e32 v[4:5], 1, v[4:5]
	s_delay_alu instid0(VALU_DEP_2) | instskip(SKIP_3) | instid1(VALU_DEP_1)
	v_cmp_eq_u32_e32 vcc_lo, 0, v21
	s_or_b32 s11, vcc_lo, s11
	s_wait_loadcnt 0x0
	v_and_b32_e32 v22, 0xffff, v20
	v_lshlrev_b64_e32 v[22:23], s0, v[22:23]
	s_add_nc_u64 s[0:1], s[0:1], 8
	s_delay_alu instid0(VALU_DEP_1) | instskip(NEXT) | instid1(VALU_DEP_2)
	v_or_b32_e32 v19, v23, v19
	v_or_b32_e32 v18, v22, v18
	s_and_not1_b32 exec_lo, exec_lo, s11
	s_cbranch_execnz .LBB9_331
; %bb.332:                              ;   in Loop: Header=BB9_280 Depth=1
	s_or_b32 exec_lo, exec_lo, s11
.LBB9_333:                              ;   in Loop: Header=BB9_280 Depth=1
	s_delay_alu instid0(SALU_CYCLE_1)
	s_or_b32 exec_lo, exec_lo, s5
                                        ; implicit-def: $vgpr4_vgpr5
.LBB9_334:                              ;   in Loop: Header=BB9_280 Depth=1
	s_and_not1_saveexec_b32 s0, s4
	s_cbranch_execz .LBB9_336
; %bb.335:                              ;   in Loop: Header=BB9_280 Depth=1
	global_load_b64 v[18:19], v[4:5], off
.LBB9_336:                              ;   in Loop: Header=BB9_280 Depth=1
	s_wait_xcnt 0x0
	s_or_b32 exec_lo, exec_lo, s0
	v_readfirstlane_b32 s0, v50
	v_mov_b64_e32 v[4:5], 0
	s_delay_alu instid0(VALU_DEP_2)
	v_cmp_eq_u32_e64 s0, s0, v50
	s_and_saveexec_b32 s1, s0
	s_cbranch_execz .LBB9_342
; %bb.337:                              ;   in Loop: Header=BB9_280 Depth=1
	global_load_b64 v[22:23], v29, s[2:3] offset:24 scope:SCOPE_SYS
	s_wait_loadcnt 0x0
	global_inv scope:SCOPE_SYS
	s_clause 0x1
	global_load_b64 v[4:5], v29, s[2:3] offset:40
	global_load_b64 v[20:21], v29, s[2:3]
	s_mov_b32 s4, exec_lo
	s_wait_loadcnt 0x1
	v_and_b32_e32 v4, v4, v22
	v_and_b32_e32 v5, v5, v23
	s_delay_alu instid0(VALU_DEP_1) | instskip(SKIP_1) | instid1(VALU_DEP_1)
	v_mul_u64_e32 v[4:5], 24, v[4:5]
	s_wait_loadcnt 0x0
	v_add_nc_u64_e32 v[4:5], v[20:21], v[4:5]
	global_load_b64 v[20:21], v[4:5], off scope:SCOPE_SYS
	s_wait_xcnt 0x0
	s_wait_loadcnt 0x0
	global_atomic_cmpswap_b64 v[4:5], v29, v[20:23], s[2:3] offset:24 th:TH_ATOMIC_RETURN scope:SCOPE_SYS
	s_wait_loadcnt 0x0
	global_inv scope:SCOPE_SYS
	s_wait_xcnt 0x0
	v_cmpx_ne_u64_e64 v[4:5], v[22:23]
	s_cbranch_execz .LBB9_341
; %bb.338:                              ;   in Loop: Header=BB9_280 Depth=1
	s_mov_b32 s5, 0
.LBB9_339:                              ;   Parent Loop BB9_280 Depth=1
                                        ; =>  This Inner Loop Header: Depth=2
	s_sleep 1
	s_clause 0x1
	global_load_b64 v[20:21], v29, s[2:3] offset:40
	global_load_b64 v[34:35], v29, s[2:3]
	v_mov_b64_e32 v[22:23], v[4:5]
	s_wait_loadcnt 0x1
	s_delay_alu instid0(VALU_DEP_1) | instskip(NEXT) | instid1(VALU_DEP_2)
	v_and_b32_e32 v4, v20, v22
	v_and_b32_e32 v20, v21, v23
	s_wait_loadcnt 0x0
	s_delay_alu instid0(VALU_DEP_2) | instskip(NEXT) | instid1(VALU_DEP_1)
	v_mad_nc_u64_u32 v[4:5], v4, 24, v[34:35]
	v_mad_u32 v5, v20, 24, v5
	global_load_b64 v[20:21], v[4:5], off scope:SCOPE_SYS
	s_wait_xcnt 0x0
	s_wait_loadcnt 0x0
	global_atomic_cmpswap_b64 v[4:5], v29, v[20:23], s[2:3] offset:24 th:TH_ATOMIC_RETURN scope:SCOPE_SYS
	s_wait_loadcnt 0x0
	global_inv scope:SCOPE_SYS
	v_cmp_eq_u64_e32 vcc_lo, v[4:5], v[22:23]
	s_or_b32 s5, vcc_lo, s5
	s_wait_xcnt 0x0
	s_and_not1_b32 exec_lo, exec_lo, s5
	s_cbranch_execnz .LBB9_339
; %bb.340:                              ;   in Loop: Header=BB9_280 Depth=1
	s_or_b32 exec_lo, exec_lo, s5
.LBB9_341:                              ;   in Loop: Header=BB9_280 Depth=1
	s_delay_alu instid0(SALU_CYCLE_1)
	s_or_b32 exec_lo, exec_lo, s4
.LBB9_342:                              ;   in Loop: Header=BB9_280 Depth=1
	s_delay_alu instid0(SALU_CYCLE_1)
	s_or_b32 exec_lo, exec_lo, s1
	s_clause 0x1
	global_load_b64 v[34:35], v29, s[2:3] offset:40
	global_load_b128 v[20:23], v29, s[2:3]
	v_readfirstlane_b32 s4, v4
	v_readfirstlane_b32 s5, v5
	s_mov_b32 s1, exec_lo
	s_wait_loadcnt 0x1
	v_and_b32_e32 v36, s4, v34
	v_and_b32_e32 v37, s5, v35
	s_delay_alu instid0(VALU_DEP_1) | instskip(SKIP_1) | instid1(VALU_DEP_1)
	v_mul_u64_e32 v[4:5], 24, v[36:37]
	s_wait_loadcnt 0x0
	v_add_nc_u64_e32 v[34:35], v[20:21], v[4:5]
	s_wait_xcnt 0x0
	s_and_saveexec_b32 s11, s0
	s_cbranch_execz .LBB9_344
; %bb.343:                              ;   in Loop: Header=BB9_280 Depth=1
	v_dual_mov_b32 v4, s1 :: v_dual_mov_b32 v5, v29
	global_store_b128 v[34:35], v[4:7], off offset:8
.LBB9_344:                              ;   in Loop: Header=BB9_280 Depth=1
	s_wait_xcnt 0x0
	s_or_b32 exec_lo, exec_lo, s11
	v_cmp_gt_u64_e32 vcc_lo, 57, v[24:25]
	v_lshlrev_b64_e32 v[4:5], 12, v[36:37]
	v_and_b32_e32 v0, 0xffffff1f, v0
	v_lshl_add_u32 v36, v32, 2, 28
	v_cndmask_b32_e32 v27, 0, v26, vcc_lo
	s_delay_alu instid0(VALU_DEP_4) | instskip(NEXT) | instid1(VALU_DEP_2)
	v_add_nc_u64_e32 v[4:5], v[22:23], v[4:5]
	v_or_b32_e32 v0, v0, v27
	s_delay_alu instid0(VALU_DEP_2) | instskip(NEXT) | instid1(VALU_DEP_3)
	v_readfirstlane_b32 s12, v4
	v_readfirstlane_b32 s13, v5
	s_delay_alu instid0(VALU_DEP_3)
	v_and_or_b32 v0, 0x1e0, v36, v0
	s_clause 0x3
	global_store_b128 v28, v[0:3], s[12:13]
	global_store_b128 v28, v[8:11], s[12:13] offset:16
	global_store_b128 v28, v[12:15], s[12:13] offset:32
	global_store_b128 v28, v[16:19], s[12:13] offset:48
	s_wait_xcnt 0x0
	s_and_saveexec_b32 s1, s0
	s_cbranch_execz .LBB9_352
; %bb.345:                              ;   in Loop: Header=BB9_280 Depth=1
	s_clause 0x1
	global_load_b64 v[12:13], v29, s[2:3] offset:32 scope:SCOPE_SYS
	global_load_b64 v[0:1], v29, s[2:3] offset:40
	s_mov_b32 s11, exec_lo
	v_dual_mov_b32 v10, s4 :: v_dual_mov_b32 v11, s5
	s_wait_loadcnt 0x0
	v_and_b32_e32 v1, s5, v1
	v_and_b32_e32 v0, s4, v0
	s_delay_alu instid0(VALU_DEP_1) | instskip(NEXT) | instid1(VALU_DEP_1)
	v_mul_u64_e32 v[0:1], 24, v[0:1]
	v_add_nc_u64_e32 v[8:9], v[20:21], v[0:1]
	global_store_b64 v[8:9], v[12:13], off
	global_wb scope:SCOPE_SYS
	s_wait_storecnt 0x0
	s_wait_xcnt 0x0
	global_atomic_cmpswap_b64 v[2:3], v29, v[10:13], s[2:3] offset:32 th:TH_ATOMIC_RETURN scope:SCOPE_SYS
	s_wait_loadcnt 0x0
	v_cmpx_ne_u64_e64 v[2:3], v[12:13]
	s_cbranch_execz .LBB9_348
; %bb.346:                              ;   in Loop: Header=BB9_280 Depth=1
	s_mov_b32 s12, 0
.LBB9_347:                              ;   Parent Loop BB9_280 Depth=1
                                        ; =>  This Inner Loop Header: Depth=2
	v_dual_mov_b32 v0, s4 :: v_dual_mov_b32 v1, s5
	s_sleep 1
	global_store_b64 v[8:9], v[2:3], off
	global_wb scope:SCOPE_SYS
	s_wait_storecnt 0x0
	s_wait_xcnt 0x0
	global_atomic_cmpswap_b64 v[0:1], v29, v[0:3], s[2:3] offset:32 th:TH_ATOMIC_RETURN scope:SCOPE_SYS
	s_wait_loadcnt 0x0
	v_cmp_eq_u64_e32 vcc_lo, v[0:1], v[2:3]
	v_mov_b64_e32 v[2:3], v[0:1]
	s_or_b32 s12, vcc_lo, s12
	s_delay_alu instid0(SALU_CYCLE_1)
	s_and_not1_b32 exec_lo, exec_lo, s12
	s_cbranch_execnz .LBB9_347
.LBB9_348:                              ;   in Loop: Header=BB9_280 Depth=1
	s_or_b32 exec_lo, exec_lo, s11
	global_load_b64 v[0:1], v29, s[2:3] offset:16
	s_mov_b32 s12, exec_lo
	s_mov_b32 s11, exec_lo
	v_mbcnt_lo_u32_b32 v2, s12, 0
	s_wait_xcnt 0x0
	s_delay_alu instid0(VALU_DEP_1)
	v_cmpx_eq_u32_e32 0, v2
	s_cbranch_execz .LBB9_350
; %bb.349:                              ;   in Loop: Header=BB9_280 Depth=1
	s_bcnt1_i32_b32 s12, s12
	s_delay_alu instid0(SALU_CYCLE_1)
	v_dual_mov_b32 v3, v29 :: v_dual_mov_b32 v2, s12
	global_wb scope:SCOPE_SYS
	s_wait_loadcnt 0x0
	s_wait_storecnt 0x0
	global_atomic_add_u64 v[0:1], v[2:3], off offset:8 scope:SCOPE_SYS
.LBB9_350:                              ;   in Loop: Header=BB9_280 Depth=1
	s_wait_xcnt 0x0
	s_or_b32 exec_lo, exec_lo, s11
	s_wait_loadcnt 0x0
	global_load_b64 v[2:3], v[0:1], off offset:16
	s_wait_loadcnt 0x0
	v_cmp_eq_u64_e32 vcc_lo, 0, v[2:3]
	s_cbranch_vccnz .LBB9_352
; %bb.351:                              ;   in Loop: Header=BB9_280 Depth=1
	global_load_b32 v0, v[0:1], off offset:24
	s_wait_xcnt 0x0
	v_mov_b32_e32 v1, v29
	s_wait_loadcnt 0x0
	v_readfirstlane_b32 s11, v0
	global_wb scope:SCOPE_SYS
	s_wait_storecnt 0x0
	global_store_b64 v[2:3], v[0:1], off scope:SCOPE_SYS
	s_and_b32 m0, s11, 0xffffff
	s_sendmsg sendmsg(MSG_INTERRUPT)
.LBB9_352:                              ;   in Loop: Header=BB9_280 Depth=1
	s_wait_xcnt 0x0
	s_or_b32 exec_lo, exec_lo, s1
	v_add_nc_u64_e32 v[0:1], v[4:5], v[28:29]
	s_branch .LBB9_356
.LBB9_353:                              ;   in Loop: Header=BB9_356 Depth=2
	s_wait_xcnt 0x0
	s_or_b32 exec_lo, exec_lo, s1
	s_delay_alu instid0(VALU_DEP_1)
	v_readfirstlane_b32 s1, v2
	s_cmp_eq_u32 s1, 0
	s_cbranch_scc1 .LBB9_355
; %bb.354:                              ;   in Loop: Header=BB9_356 Depth=2
	s_sleep 1
	s_cbranch_execnz .LBB9_356
	s_branch .LBB9_358
.LBB9_355:                              ;   in Loop: Header=BB9_280 Depth=1
	s_branch .LBB9_358
.LBB9_356:                              ;   Parent Loop BB9_280 Depth=1
                                        ; =>  This Inner Loop Header: Depth=2
	v_mov_b32_e32 v2, 1
	s_and_saveexec_b32 s1, s0
	s_cbranch_execz .LBB9_353
; %bb.357:                              ;   in Loop: Header=BB9_356 Depth=2
	global_load_b32 v2, v[34:35], off offset:20 scope:SCOPE_SYS
	s_wait_loadcnt 0x0
	global_inv scope:SCOPE_SYS
	v_and_b32_e32 v2, 1, v2
	s_branch .LBB9_353
.LBB9_358:                              ;   in Loop: Header=BB9_280 Depth=1
	global_load_b64 v[0:1], v[0:1], off
	s_wait_xcnt 0x0
	s_and_saveexec_b32 s11, s0
	s_cbranch_execz .LBB9_279
; %bb.359:                              ;   in Loop: Header=BB9_280 Depth=1
	s_clause 0x2
	global_load_b64 v[2:3], v29, s[2:3] offset:40
	global_load_b64 v[12:13], v29, s[2:3] offset:24 scope:SCOPE_SYS
	global_load_b64 v[4:5], v29, s[2:3]
	s_wait_loadcnt 0x2
	v_readfirstlane_b32 s12, v2
	v_readfirstlane_b32 s13, v3
	s_add_nc_u64 s[0:1], s[12:13], 1
	s_delay_alu instid0(SALU_CYCLE_1) | instskip(NEXT) | instid1(SALU_CYCLE_1)
	s_add_nc_u64 s[4:5], s[0:1], s[4:5]
	s_cmp_eq_u64 s[4:5], 0
	s_cselect_b32 s1, s1, s5
	s_cselect_b32 s0, s0, s4
	s_delay_alu instid0(SALU_CYCLE_1) | instskip(SKIP_1) | instid1(SALU_CYCLE_1)
	v_dual_mov_b32 v11, s1 :: v_dual_mov_b32 v10, s0
	s_and_b64 s[4:5], s[0:1], s[12:13]
	s_mul_u64 s[4:5], s[4:5], 24
	s_wait_loadcnt 0x0
	v_add_nc_u64_e32 v[8:9], s[4:5], v[4:5]
	global_store_b64 v[8:9], v[12:13], off
	global_wb scope:SCOPE_SYS
	s_wait_storecnt 0x0
	s_wait_xcnt 0x0
	global_atomic_cmpswap_b64 v[4:5], v29, v[10:13], s[2:3] offset:24 th:TH_ATOMIC_RETURN scope:SCOPE_SYS
	s_wait_loadcnt 0x0
	v_cmp_ne_u64_e32 vcc_lo, v[4:5], v[12:13]
	s_and_b32 exec_lo, exec_lo, vcc_lo
	s_cbranch_execz .LBB9_279
; %bb.360:                              ;   in Loop: Header=BB9_280 Depth=1
	s_mov_b32 s4, 0
.LBB9_361:                              ;   Parent Loop BB9_280 Depth=1
                                        ; =>  This Inner Loop Header: Depth=2
	v_dual_mov_b32 v2, s0 :: v_dual_mov_b32 v3, s1
	s_sleep 1
	global_store_b64 v[8:9], v[4:5], off
	global_wb scope:SCOPE_SYS
	s_wait_storecnt 0x0
	s_wait_xcnt 0x0
	global_atomic_cmpswap_b64 v[2:3], v29, v[2:5], s[2:3] offset:24 th:TH_ATOMIC_RETURN scope:SCOPE_SYS
	s_wait_loadcnt 0x0
	v_cmp_eq_u64_e32 vcc_lo, v[2:3], v[4:5]
	v_mov_b64_e32 v[4:5], v[2:3]
	s_or_b32 s4, vcc_lo, s4
	s_delay_alu instid0(SALU_CYCLE_1)
	s_and_not1_b32 exec_lo, exec_lo, s4
	s_cbranch_execnz .LBB9_361
	s_branch .LBB9_279
.LBB9_362:
	s_or_b32 exec_lo, exec_lo, s7
                                        ; implicit-def: $vgpr28
                                        ; implicit-def: $vgpr50
.LBB9_363:
	s_and_not1_saveexec_b32 s6, s6
	s_cbranch_execz .LBB9_391
; %bb.364:
	v_readfirstlane_b32 s0, v50
	v_mov_b64_e32 v[2:3], 0
	s_delay_alu instid0(VALU_DEP_2)
	v_cmp_eq_u32_e64 s0, s0, v50
	s_and_saveexec_b32 s1, s0
	s_cbranch_execz .LBB9_370
; %bb.365:
	v_mov_b32_e32 v4, 0
	s_mov_b32 s4, exec_lo
	global_load_b64 v[8:9], v4, s[2:3] offset:24 scope:SCOPE_SYS
	s_wait_loadcnt 0x0
	global_inv scope:SCOPE_SYS
	s_clause 0x1
	global_load_b64 v[2:3], v4, s[2:3] offset:40
	global_load_b64 v[6:7], v4, s[2:3]
	s_wait_loadcnt 0x1
	v_and_b32_e32 v2, v2, v8
	v_and_b32_e32 v3, v3, v9
	s_delay_alu instid0(VALU_DEP_1) | instskip(SKIP_1) | instid1(VALU_DEP_1)
	v_mul_u64_e32 v[2:3], 24, v[2:3]
	s_wait_loadcnt 0x0
	v_add_nc_u64_e32 v[2:3], v[6:7], v[2:3]
	global_load_b64 v[6:7], v[2:3], off scope:SCOPE_SYS
	s_wait_xcnt 0x0
	s_wait_loadcnt 0x0
	global_atomic_cmpswap_b64 v[2:3], v4, v[6:9], s[2:3] offset:24 th:TH_ATOMIC_RETURN scope:SCOPE_SYS
	s_wait_loadcnt 0x0
	global_inv scope:SCOPE_SYS
	s_wait_xcnt 0x0
	v_cmpx_ne_u64_e64 v[2:3], v[8:9]
	s_cbranch_execz .LBB9_369
; %bb.366:
	s_mov_b32 s5, 0
.LBB9_367:                              ; =>This Inner Loop Header: Depth=1
	s_sleep 1
	s_clause 0x1
	global_load_b64 v[6:7], v4, s[2:3] offset:40
	global_load_b64 v[10:11], v4, s[2:3]
	v_mov_b64_e32 v[8:9], v[2:3]
	s_wait_loadcnt 0x1
	s_delay_alu instid0(VALU_DEP_1) | instskip(NEXT) | instid1(VALU_DEP_2)
	v_and_b32_e32 v2, v6, v8
	v_and_b32_e32 v5, v7, v9
	s_wait_loadcnt 0x0
	s_delay_alu instid0(VALU_DEP_2) | instskip(NEXT) | instid1(VALU_DEP_1)
	v_mad_nc_u64_u32 v[2:3], v2, 24, v[10:11]
	v_mad_u32 v3, v5, 24, v3
	global_load_b64 v[6:7], v[2:3], off scope:SCOPE_SYS
	s_wait_xcnt 0x0
	s_wait_loadcnt 0x0
	global_atomic_cmpswap_b64 v[2:3], v4, v[6:9], s[2:3] offset:24 th:TH_ATOMIC_RETURN scope:SCOPE_SYS
	s_wait_loadcnt 0x0
	global_inv scope:SCOPE_SYS
	v_cmp_eq_u64_e32 vcc_lo, v[2:3], v[8:9]
	s_or_b32 s5, vcc_lo, s5
	s_wait_xcnt 0x0
	s_and_not1_b32 exec_lo, exec_lo, s5
	s_cbranch_execnz .LBB9_367
; %bb.368:
	s_or_b32 exec_lo, exec_lo, s5
.LBB9_369:
	s_delay_alu instid0(SALU_CYCLE_1)
	s_or_b32 exec_lo, exec_lo, s4
.LBB9_370:
	s_delay_alu instid0(SALU_CYCLE_1)
	s_or_b32 exec_lo, exec_lo, s1
	v_readfirstlane_b32 s4, v2
	v_mov_b32_e32 v29, 0
	v_readfirstlane_b32 s5, v3
	s_mov_b32 s1, exec_lo
	s_clause 0x1
	global_load_b64 v[8:9], v29, s[2:3] offset:40
	global_load_b128 v[4:7], v29, s[2:3]
	s_wait_loadcnt 0x1
	v_and_b32_e32 v2, s4, v8
	v_and_b32_e32 v3, s5, v9
	s_delay_alu instid0(VALU_DEP_1) | instskip(SKIP_1) | instid1(VALU_DEP_1)
	v_mul_u64_e32 v[8:9], 24, v[2:3]
	s_wait_loadcnt 0x0
	v_add_nc_u64_e32 v[8:9], v[4:5], v[8:9]
	s_wait_xcnt 0x0
	s_and_saveexec_b32 s7, s0
	s_cbranch_execz .LBB9_372
; %bb.371:
	v_mov_b64_e32 v[12:13], 0x100000002
	v_dual_mov_b32 v10, s1 :: v_dual_mov_b32 v11, v29
	global_store_b128 v[8:9], v[10:13], off offset:8
.LBB9_372:
	s_wait_xcnt 0x0
	s_or_b32 exec_lo, exec_lo, s7
	v_lshlrev_b64_e32 v[2:3], 12, v[2:3]
	s_mov_b32 s12, 0
	v_and_or_b32 v0, 0xffffff1f, v0, 32
	s_mov_b32 s13, s12
	s_mov_b32 s14, s12
	;; [unrolled: 1-line block ×3, first 2 shown]
	v_mov_b64_e32 v[10:11], s[12:13]
	v_add_nc_u64_e32 v[6:7], v[6:7], v[2:3]
	v_mov_b64_e32 v[12:13], s[14:15]
	v_dual_mov_b32 v2, v29 :: v_dual_mov_b32 v3, v29
	s_delay_alu instid0(VALU_DEP_3) | instskip(NEXT) | instid1(VALU_DEP_4)
	v_readfirstlane_b32 s10, v6
	v_readfirstlane_b32 s11, v7
	s_clause 0x3
	global_store_b128 v28, v[0:3], s[10:11]
	global_store_b128 v28, v[10:13], s[10:11] offset:16
	global_store_b128 v28, v[10:13], s[10:11] offset:32
	;; [unrolled: 1-line block ×3, first 2 shown]
	s_wait_xcnt 0x0
	s_and_saveexec_b32 s1, s0
	s_cbranch_execz .LBB9_380
; %bb.373:
	v_dual_mov_b32 v10, 0 :: v_dual_mov_b32 v13, s5
	s_mov_b32 s7, exec_lo
	s_clause 0x1
	global_load_b64 v[14:15], v10, s[2:3] offset:32 scope:SCOPE_SYS
	global_load_b64 v[0:1], v10, s[2:3] offset:40
	s_wait_loadcnt 0x0
	v_dual_mov_b32 v12, s4 :: v_dual_bitop2_b32 v1, s5, v1 bitop3:0x40
	v_and_b32_e32 v0, s4, v0
	s_delay_alu instid0(VALU_DEP_1) | instskip(NEXT) | instid1(VALU_DEP_1)
	v_mul_u64_e32 v[0:1], 24, v[0:1]
	v_add_nc_u64_e32 v[4:5], v[4:5], v[0:1]
	global_store_b64 v[4:5], v[14:15], off
	global_wb scope:SCOPE_SYS
	s_wait_storecnt 0x0
	s_wait_xcnt 0x0
	global_atomic_cmpswap_b64 v[2:3], v10, v[12:15], s[2:3] offset:32 th:TH_ATOMIC_RETURN scope:SCOPE_SYS
	s_wait_loadcnt 0x0
	v_cmpx_ne_u64_e64 v[2:3], v[14:15]
	s_cbranch_execz .LBB9_376
; %bb.374:
	s_mov_b32 s10, 0
.LBB9_375:                              ; =>This Inner Loop Header: Depth=1
	v_dual_mov_b32 v0, s4 :: v_dual_mov_b32 v1, s5
	s_sleep 1
	global_store_b64 v[4:5], v[2:3], off
	global_wb scope:SCOPE_SYS
	s_wait_storecnt 0x0
	s_wait_xcnt 0x0
	global_atomic_cmpswap_b64 v[0:1], v10, v[0:3], s[2:3] offset:32 th:TH_ATOMIC_RETURN scope:SCOPE_SYS
	s_wait_loadcnt 0x0
	v_cmp_eq_u64_e32 vcc_lo, v[0:1], v[2:3]
	v_mov_b64_e32 v[2:3], v[0:1]
	s_or_b32 s10, vcc_lo, s10
	s_delay_alu instid0(SALU_CYCLE_1)
	s_and_not1_b32 exec_lo, exec_lo, s10
	s_cbranch_execnz .LBB9_375
.LBB9_376:
	s_or_b32 exec_lo, exec_lo, s7
	v_mov_b32_e32 v3, 0
	s_mov_b32 s10, exec_lo
	s_mov_b32 s7, exec_lo
	v_mbcnt_lo_u32_b32 v2, s10, 0
	global_load_b64 v[0:1], v3, s[2:3] offset:16
	s_wait_xcnt 0x0
	v_cmpx_eq_u32_e32 0, v2
	s_cbranch_execz .LBB9_378
; %bb.377:
	s_bcnt1_i32_b32 s10, s10
	s_delay_alu instid0(SALU_CYCLE_1)
	v_mov_b32_e32 v2, s10
	global_wb scope:SCOPE_SYS
	s_wait_loadcnt 0x0
	s_wait_storecnt 0x0
	global_atomic_add_u64 v[0:1], v[2:3], off offset:8 scope:SCOPE_SYS
.LBB9_378:
	s_wait_xcnt 0x0
	s_or_b32 exec_lo, exec_lo, s7
	s_wait_loadcnt 0x0
	global_load_b64 v[2:3], v[0:1], off offset:16
	s_wait_loadcnt 0x0
	v_cmp_eq_u64_e32 vcc_lo, 0, v[2:3]
	s_cbranch_vccnz .LBB9_380
; %bb.379:
	global_load_b32 v0, v[0:1], off offset:24
	s_wait_xcnt 0x0
	v_mov_b32_e32 v1, 0
	s_wait_loadcnt 0x0
	v_readfirstlane_b32 s7, v0
	global_wb scope:SCOPE_SYS
	s_wait_storecnt 0x0
	global_store_b64 v[2:3], v[0:1], off scope:SCOPE_SYS
	s_and_b32 m0, s7, 0xffffff
	s_sendmsg sendmsg(MSG_INTERRUPT)
.LBB9_380:
	s_wait_xcnt 0x0
	s_or_b32 exec_lo, exec_lo, s1
	v_add_nc_u64_e32 v[0:1], v[6:7], v[28:29]
	s_branch .LBB9_384
.LBB9_381:                              ;   in Loop: Header=BB9_384 Depth=1
	s_wait_xcnt 0x0
	s_or_b32 exec_lo, exec_lo, s1
	s_delay_alu instid0(VALU_DEP_1)
	v_readfirstlane_b32 s1, v2
	s_cmp_eq_u32 s1, 0
	s_cbranch_scc1 .LBB9_383
; %bb.382:                              ;   in Loop: Header=BB9_384 Depth=1
	s_sleep 1
	s_cbranch_execnz .LBB9_384
	s_branch .LBB9_386
.LBB9_383:
	s_branch .LBB9_386
.LBB9_384:                              ; =>This Inner Loop Header: Depth=1
	v_mov_b32_e32 v2, 1
	s_and_saveexec_b32 s1, s0
	s_cbranch_execz .LBB9_381
; %bb.385:                              ;   in Loop: Header=BB9_384 Depth=1
	global_load_b32 v2, v[8:9], off offset:20 scope:SCOPE_SYS
	s_wait_loadcnt 0x0
	global_inv scope:SCOPE_SYS
	v_and_b32_e32 v2, 1, v2
	s_branch .LBB9_381
.LBB9_386:
	global_load_b64 v[0:1], v[0:1], off
	s_wait_xcnt 0x0
	s_and_saveexec_b32 s7, s0
	s_cbranch_execz .LBB9_390
; %bb.387:
	v_mov_b32_e32 v8, 0
	s_clause 0x2
	global_load_b64 v[2:3], v8, s[2:3] offset:40
	global_load_b64 v[12:13], v8, s[2:3] offset:24 scope:SCOPE_SYS
	global_load_b64 v[4:5], v8, s[2:3]
	s_wait_loadcnt 0x2
	v_readfirstlane_b32 s10, v2
	v_readfirstlane_b32 s11, v3
	s_add_nc_u64 s[0:1], s[10:11], 1
	s_delay_alu instid0(SALU_CYCLE_1) | instskip(NEXT) | instid1(SALU_CYCLE_1)
	s_add_nc_u64 s[4:5], s[0:1], s[4:5]
	s_cmp_eq_u64 s[4:5], 0
	s_cselect_b32 s1, s1, s5
	s_cselect_b32 s0, s0, s4
	v_mov_b32_e32 v11, s1
	s_and_b64 s[4:5], s[0:1], s[10:11]
	v_mov_b32_e32 v10, s0
	s_mul_u64 s[4:5], s[4:5], 24
	s_wait_loadcnt 0x0
	v_add_nc_u64_e32 v[6:7], s[4:5], v[4:5]
	global_store_b64 v[6:7], v[12:13], off
	global_wb scope:SCOPE_SYS
	s_wait_storecnt 0x0
	s_wait_xcnt 0x0
	global_atomic_cmpswap_b64 v[4:5], v8, v[10:13], s[2:3] offset:24 th:TH_ATOMIC_RETURN scope:SCOPE_SYS
	s_wait_loadcnt 0x0
	v_cmp_ne_u64_e32 vcc_lo, v[4:5], v[12:13]
	s_and_b32 exec_lo, exec_lo, vcc_lo
	s_cbranch_execz .LBB9_390
; %bb.388:
	s_mov_b32 s4, 0
.LBB9_389:                              ; =>This Inner Loop Header: Depth=1
	v_dual_mov_b32 v2, s0 :: v_dual_mov_b32 v3, s1
	s_sleep 1
	global_store_b64 v[6:7], v[4:5], off
	global_wb scope:SCOPE_SYS
	s_wait_storecnt 0x0
	s_wait_xcnt 0x0
	global_atomic_cmpswap_b64 v[2:3], v8, v[2:5], s[2:3] offset:24 th:TH_ATOMIC_RETURN scope:SCOPE_SYS
	s_wait_loadcnt 0x0
	v_cmp_eq_u64_e32 vcc_lo, v[2:3], v[4:5]
	v_mov_b64_e32 v[4:5], v[2:3]
	s_or_b32 s4, vcc_lo, s4
	s_delay_alu instid0(SALU_CYCLE_1)
	s_and_not1_b32 exec_lo, exec_lo, s4
	s_cbranch_execnz .LBB9_389
.LBB9_390:
	s_or_b32 exec_lo, exec_lo, s7
.LBB9_391:
	s_delay_alu instid0(SALU_CYCLE_1)
	s_or_b32 exec_lo, exec_lo, s6
	s_get_pc_i64 s[0:1]
	s_add_nc_u64 s[0:1], s[0:1], .str.3@rel64+4
	s_get_pc_i64 s[2:3]
	s_add_nc_u64 s[2:3], s[2:3], .str.3@rel64+10
	v_dual_mov_b32 v2, s0 :: v_dual_mov_b32 v3, s1
	s_sub_co_i32 s4, s2, s0
	v_mov_b32_e32 v6, 1
	s_ashr_i32 s5, s4, 31
	s_delay_alu instid0(SALU_CYCLE_1) | instskip(SKIP_2) | instid1(SALU_CYCLE_1)
	v_dual_mov_b32 v4, s4 :: v_dual_mov_b32 v5, s5
	s_get_pc_i64 s[2:3]
	s_add_nc_u64 s[2:3], s[2:3], __ockl_fprintf_append_string_n@rel64+4
	s_swap_pc_i64 s[30:31], s[2:3]
	s_trap 2
.Lfunc_end9:
	.size	__assert_fail, .Lfunc_end9-__assert_fail
                                        ; -- End function
	.set .L__assert_fail.num_vgpr, max(51, .L__ockl_fprintf_append_string_n.num_vgpr)
	.set .L__assert_fail.num_agpr, max(0, .L__ockl_fprintf_append_string_n.num_agpr)
	.set .L__assert_fail.numbered_sgpr, max(34, .L__ockl_fprintf_append_string_n.numbered_sgpr)
	.set .L__assert_fail.num_named_barrier, max(0, .L__ockl_fprintf_append_string_n.num_named_barrier)
	.set .L__assert_fail.private_seg_size, 64+max(.L__ockl_fprintf_append_string_n.private_seg_size)
	.set .L__assert_fail.uses_vcc, or(1, .L__ockl_fprintf_append_string_n.uses_vcc)
	.set .L__assert_fail.uses_flat_scratch, or(1, .L__ockl_fprintf_append_string_n.uses_flat_scratch)
	.set .L__assert_fail.has_dyn_sized_stack, or(0, .L__ockl_fprintf_append_string_n.has_dyn_sized_stack)
	.set .L__assert_fail.has_recursion, or(0, .L__ockl_fprintf_append_string_n.has_recursion)
	.set .L__assert_fail.has_indirect_call, or(0, .L__ockl_fprintf_append_string_n.has_indirect_call)
	.section	.AMDGPU.csdata,"",@progbits
; Function info:
; codeLenInByte = 15744
; TotalNumSgprs: 36
; NumVgprs: 51
; ScratchSize: 64
; MemoryBound: 0
	.section	.text._Z16wvSplitK_hf_sml_I6__halfLi64ELi2ELi16ELi8ELi2ELi1EEviiPKT_S3_PS1_ii,"axG",@progbits,_Z16wvSplitK_hf_sml_I6__halfLi64ELi2ELi16ELi8ELi2ELi1EEviiPKT_S3_PS1_ii,comdat
	.protected	_Z16wvSplitK_hf_sml_I6__halfLi64ELi2ELi16ELi8ELi2ELi1EEviiPKT_S3_PS1_ii ; -- Begin function _Z16wvSplitK_hf_sml_I6__halfLi64ELi2ELi16ELi8ELi2ELi1EEviiPKT_S3_PS1_ii
	.globl	_Z16wvSplitK_hf_sml_I6__halfLi64ELi2ELi16ELi8ELi2ELi1EEviiPKT_S3_PS1_ii
	.p2align	8
	.type	_Z16wvSplitK_hf_sml_I6__halfLi64ELi2ELi16ELi8ELi2ELi1EEviiPKT_S3_PS1_ii,@function
_Z16wvSplitK_hf_sml_I6__halfLi64ELi2ELi16ELi8ELi2ELi1EEviiPKT_S3_PS1_ii: ; @_Z16wvSplitK_hf_sml_I6__halfLi64ELi2ELi16ELi8ELi2ELi1EEviiPKT_S3_PS1_ii
; %bb.0:
	s_get_pc_i64 s[2:3]
	s_add_nc_u64 s[2:3], s[2:3], __PRETTY_FUNCTION__._Z16wvSplitK_hf_sml_I6__halfLi64ELi2ELi16ELi8ELi2ELi1EEviiPKT_S3_PS1_ii@rel64+4
	s_delay_alu instid0(SALU_CYCLE_1)
	v_dual_mov_b32 v0, 0x224 :: v_dual_mov_b32 v1, s2
	v_mov_b32_e32 v2, s3
	s_add_nc_u64 s[8:9], s[0:1], 40
	s_get_pc_i64 s[0:1]
	s_add_nc_u64 s[0:1], s[0:1], __assert_fail@rel64+4
	s_mov_b32 s32, 0
	s_swap_pc_i64 s[30:31], s[0:1]
	.section	.rodata,"a",@progbits
	.p2align	6, 0x0
	.amdhsa_kernel _Z16wvSplitK_hf_sml_I6__halfLi64ELi2ELi16ELi8ELi2ELi1EEviiPKT_S3_PS1_ii
		.amdhsa_group_segment_fixed_size 0
		.amdhsa_private_segment_fixed_size 64
		.amdhsa_kernarg_size 296
		.amdhsa_user_sgpr_count 2
		.amdhsa_user_sgpr_dispatch_ptr 0
		.amdhsa_user_sgpr_queue_ptr 0
		.amdhsa_user_sgpr_kernarg_segment_ptr 1
		.amdhsa_user_sgpr_dispatch_id 0
		.amdhsa_user_sgpr_kernarg_preload_length 0
		.amdhsa_user_sgpr_kernarg_preload_offset 0
		.amdhsa_user_sgpr_private_segment_size 0
		.amdhsa_wavefront_size32 1
		.amdhsa_uses_dynamic_stack 0
		.amdhsa_enable_private_segment 1
		.amdhsa_system_sgpr_workgroup_id_x 1
		.amdhsa_system_sgpr_workgroup_id_y 0
		.amdhsa_system_sgpr_workgroup_id_z 0
		.amdhsa_system_sgpr_workgroup_info 0
		.amdhsa_system_vgpr_workitem_id 0
		.amdhsa_next_free_vgpr 51
		.amdhsa_next_free_sgpr 34
		.amdhsa_named_barrier_count 0
		.amdhsa_reserve_vcc 1
		.amdhsa_float_round_mode_32 0
		.amdhsa_float_round_mode_16_64 0
		.amdhsa_float_denorm_mode_32 3
		.amdhsa_float_denorm_mode_16_64 3
		.amdhsa_fp16_overflow 0
		.amdhsa_memory_ordered 1
		.amdhsa_forward_progress 1
		.amdhsa_inst_pref_size 1
		.amdhsa_round_robin_scheduling 0
		.amdhsa_exception_fp_ieee_invalid_op 0
		.amdhsa_exception_fp_denorm_src 0
		.amdhsa_exception_fp_ieee_div_zero 0
		.amdhsa_exception_fp_ieee_overflow 0
		.amdhsa_exception_fp_ieee_underflow 0
		.amdhsa_exception_fp_ieee_inexact 0
		.amdhsa_exception_int_div_zero 0
	.end_amdhsa_kernel
	.section	.text._Z16wvSplitK_hf_sml_I6__halfLi64ELi2ELi16ELi8ELi2ELi1EEviiPKT_S3_PS1_ii,"axG",@progbits,_Z16wvSplitK_hf_sml_I6__halfLi64ELi2ELi16ELi8ELi2ELi1EEviiPKT_S3_PS1_ii,comdat
.Lfunc_end10:
	.size	_Z16wvSplitK_hf_sml_I6__halfLi64ELi2ELi16ELi8ELi2ELi1EEviiPKT_S3_PS1_ii, .Lfunc_end10-_Z16wvSplitK_hf_sml_I6__halfLi64ELi2ELi16ELi8ELi2ELi1EEviiPKT_S3_PS1_ii
                                        ; -- End function
	.set _Z16wvSplitK_hf_sml_I6__halfLi64ELi2ELi16ELi8ELi2ELi1EEviiPKT_S3_PS1_ii.num_vgpr, max(3, .L__assert_fail.num_vgpr)
	.set _Z16wvSplitK_hf_sml_I6__halfLi64ELi2ELi16ELi8ELi2ELi1EEviiPKT_S3_PS1_ii.num_agpr, max(0, .L__assert_fail.num_agpr)
	.set _Z16wvSplitK_hf_sml_I6__halfLi64ELi2ELi16ELi8ELi2ELi1EEviiPKT_S3_PS1_ii.numbered_sgpr, max(33, .L__assert_fail.numbered_sgpr)
	.set _Z16wvSplitK_hf_sml_I6__halfLi64ELi2ELi16ELi8ELi2ELi1EEviiPKT_S3_PS1_ii.num_named_barrier, max(0, .L__assert_fail.num_named_barrier)
	.set _Z16wvSplitK_hf_sml_I6__halfLi64ELi2ELi16ELi8ELi2ELi1EEviiPKT_S3_PS1_ii.private_seg_size, 0+max(.L__assert_fail.private_seg_size)
	.set _Z16wvSplitK_hf_sml_I6__halfLi64ELi2ELi16ELi8ELi2ELi1EEviiPKT_S3_PS1_ii.uses_vcc, or(1, .L__assert_fail.uses_vcc)
	.set _Z16wvSplitK_hf_sml_I6__halfLi64ELi2ELi16ELi8ELi2ELi1EEviiPKT_S3_PS1_ii.uses_flat_scratch, or(0, .L__assert_fail.uses_flat_scratch)
	.set _Z16wvSplitK_hf_sml_I6__halfLi64ELi2ELi16ELi8ELi2ELi1EEviiPKT_S3_PS1_ii.has_dyn_sized_stack, or(0, .L__assert_fail.has_dyn_sized_stack)
	.set _Z16wvSplitK_hf_sml_I6__halfLi64ELi2ELi16ELi8ELi2ELi1EEviiPKT_S3_PS1_ii.has_recursion, or(0, .L__assert_fail.has_recursion)
	.set _Z16wvSplitK_hf_sml_I6__halfLi64ELi2ELi16ELi8ELi2ELi1EEviiPKT_S3_PS1_ii.has_indirect_call, or(0, .L__assert_fail.has_indirect_call)
	.section	.AMDGPU.csdata,"",@progbits
; Kernel info:
; codeLenInByte = 64
; TotalNumSgprs: 36
; NumVgprs: 51
; ScratchSize: 64
; MemoryBound: 0
; FloatMode: 240
; IeeeMode: 1
; LDSByteSize: 0 bytes/workgroup (compile time only)
; SGPRBlocks: 0
; VGPRBlocks: 3
; NumSGPRsForWavesPerEU: 36
; NumVGPRsForWavesPerEU: 51
; NamedBarCnt: 0
; Occupancy: 16
; WaveLimiterHint : 1
; COMPUTE_PGM_RSRC2:SCRATCH_EN: 1
; COMPUTE_PGM_RSRC2:USER_SGPR: 2
; COMPUTE_PGM_RSRC2:TRAP_HANDLER: 0
; COMPUTE_PGM_RSRC2:TGID_X_EN: 1
; COMPUTE_PGM_RSRC2:TGID_Y_EN: 0
; COMPUTE_PGM_RSRC2:TGID_Z_EN: 0
; COMPUTE_PGM_RSRC2:TIDIG_COMP_CNT: 0
	.section	.text._Z12wvSplitK_hf_I6__halfLi64ELi2ELi16ELi8ELi2ELi1EEviiPKT_S3_PS1_ii,"axG",@progbits,_Z12wvSplitK_hf_I6__halfLi64ELi2ELi16ELi8ELi2ELi1EEviiPKT_S3_PS1_ii,comdat
	.protected	_Z12wvSplitK_hf_I6__halfLi64ELi2ELi16ELi8ELi2ELi1EEviiPKT_S3_PS1_ii ; -- Begin function _Z12wvSplitK_hf_I6__halfLi64ELi2ELi16ELi8ELi2ELi1EEviiPKT_S3_PS1_ii
	.globl	_Z12wvSplitK_hf_I6__halfLi64ELi2ELi16ELi8ELi2ELi1EEviiPKT_S3_PS1_ii
	.p2align	8
	.type	_Z12wvSplitK_hf_I6__halfLi64ELi2ELi16ELi8ELi2ELi1EEviiPKT_S3_PS1_ii,@function
_Z12wvSplitK_hf_I6__halfLi64ELi2ELi16ELi8ELi2ELi1EEviiPKT_S3_PS1_ii: ; @_Z12wvSplitK_hf_I6__halfLi64ELi2ELi16ELi8ELi2ELi1EEviiPKT_S3_PS1_ii
; %bb.0:
	s_get_pc_i64 s[2:3]
	s_add_nc_u64 s[2:3], s[2:3], __PRETTY_FUNCTION__._Z12wvSplitK_hf_I6__halfLi64ELi2ELi16ELi8ELi2ELi1EEviiPKT_S3_PS1_ii@rel64+4
	s_delay_alu instid0(SALU_CYCLE_1)
	v_dual_mov_b32 v0, 0x351 :: v_dual_mov_b32 v1, s2
	v_mov_b32_e32 v2, s3
	s_add_nc_u64 s[8:9], s[0:1], 40
	s_get_pc_i64 s[0:1]
	s_add_nc_u64 s[0:1], s[0:1], __assert_fail@rel64+4
	s_mov_b32 s32, 0
	s_swap_pc_i64 s[30:31], s[0:1]
	.section	.rodata,"a",@progbits
	.p2align	6, 0x0
	.amdhsa_kernel _Z12wvSplitK_hf_I6__halfLi64ELi2ELi16ELi8ELi2ELi1EEviiPKT_S3_PS1_ii
		.amdhsa_group_segment_fixed_size 0
		.amdhsa_private_segment_fixed_size 64
		.amdhsa_kernarg_size 296
		.amdhsa_user_sgpr_count 2
		.amdhsa_user_sgpr_dispatch_ptr 0
		.amdhsa_user_sgpr_queue_ptr 0
		.amdhsa_user_sgpr_kernarg_segment_ptr 1
		.amdhsa_user_sgpr_dispatch_id 0
		.amdhsa_user_sgpr_kernarg_preload_length 0
		.amdhsa_user_sgpr_kernarg_preload_offset 0
		.amdhsa_user_sgpr_private_segment_size 0
		.amdhsa_wavefront_size32 1
		.amdhsa_uses_dynamic_stack 0
		.amdhsa_enable_private_segment 1
		.amdhsa_system_sgpr_workgroup_id_x 1
		.amdhsa_system_sgpr_workgroup_id_y 0
		.amdhsa_system_sgpr_workgroup_id_z 0
		.amdhsa_system_sgpr_workgroup_info 0
		.amdhsa_system_vgpr_workitem_id 0
		.amdhsa_next_free_vgpr 51
		.amdhsa_next_free_sgpr 34
		.amdhsa_named_barrier_count 0
		.amdhsa_reserve_vcc 1
		.amdhsa_float_round_mode_32 0
		.amdhsa_float_round_mode_16_64 0
		.amdhsa_float_denorm_mode_32 3
		.amdhsa_float_denorm_mode_16_64 3
		.amdhsa_fp16_overflow 0
		.amdhsa_memory_ordered 1
		.amdhsa_forward_progress 1
		.amdhsa_inst_pref_size 1
		.amdhsa_round_robin_scheduling 0
		.amdhsa_exception_fp_ieee_invalid_op 0
		.amdhsa_exception_fp_denorm_src 0
		.amdhsa_exception_fp_ieee_div_zero 0
		.amdhsa_exception_fp_ieee_overflow 0
		.amdhsa_exception_fp_ieee_underflow 0
		.amdhsa_exception_fp_ieee_inexact 0
		.amdhsa_exception_int_div_zero 0
	.end_amdhsa_kernel
	.section	.text._Z12wvSplitK_hf_I6__halfLi64ELi2ELi16ELi8ELi2ELi1EEviiPKT_S3_PS1_ii,"axG",@progbits,_Z12wvSplitK_hf_I6__halfLi64ELi2ELi16ELi8ELi2ELi1EEviiPKT_S3_PS1_ii,comdat
.Lfunc_end11:
	.size	_Z12wvSplitK_hf_I6__halfLi64ELi2ELi16ELi8ELi2ELi1EEviiPKT_S3_PS1_ii, .Lfunc_end11-_Z12wvSplitK_hf_I6__halfLi64ELi2ELi16ELi8ELi2ELi1EEviiPKT_S3_PS1_ii
                                        ; -- End function
	.set _Z12wvSplitK_hf_I6__halfLi64ELi2ELi16ELi8ELi2ELi1EEviiPKT_S3_PS1_ii.num_vgpr, max(3, .L__assert_fail.num_vgpr)
	.set _Z12wvSplitK_hf_I6__halfLi64ELi2ELi16ELi8ELi2ELi1EEviiPKT_S3_PS1_ii.num_agpr, max(0, .L__assert_fail.num_agpr)
	.set _Z12wvSplitK_hf_I6__halfLi64ELi2ELi16ELi8ELi2ELi1EEviiPKT_S3_PS1_ii.numbered_sgpr, max(33, .L__assert_fail.numbered_sgpr)
	.set _Z12wvSplitK_hf_I6__halfLi64ELi2ELi16ELi8ELi2ELi1EEviiPKT_S3_PS1_ii.num_named_barrier, max(0, .L__assert_fail.num_named_barrier)
	.set _Z12wvSplitK_hf_I6__halfLi64ELi2ELi16ELi8ELi2ELi1EEviiPKT_S3_PS1_ii.private_seg_size, 0+max(.L__assert_fail.private_seg_size)
	.set _Z12wvSplitK_hf_I6__halfLi64ELi2ELi16ELi8ELi2ELi1EEviiPKT_S3_PS1_ii.uses_vcc, or(1, .L__assert_fail.uses_vcc)
	.set _Z12wvSplitK_hf_I6__halfLi64ELi2ELi16ELi8ELi2ELi1EEviiPKT_S3_PS1_ii.uses_flat_scratch, or(0, .L__assert_fail.uses_flat_scratch)
	.set _Z12wvSplitK_hf_I6__halfLi64ELi2ELi16ELi8ELi2ELi1EEviiPKT_S3_PS1_ii.has_dyn_sized_stack, or(0, .L__assert_fail.has_dyn_sized_stack)
	.set _Z12wvSplitK_hf_I6__halfLi64ELi2ELi16ELi8ELi2ELi1EEviiPKT_S3_PS1_ii.has_recursion, or(0, .L__assert_fail.has_recursion)
	.set _Z12wvSplitK_hf_I6__halfLi64ELi2ELi16ELi8ELi2ELi1EEviiPKT_S3_PS1_ii.has_indirect_call, or(0, .L__assert_fail.has_indirect_call)
	.section	.AMDGPU.csdata,"",@progbits
; Kernel info:
; codeLenInByte = 64
; TotalNumSgprs: 36
; NumVgprs: 51
; ScratchSize: 64
; MemoryBound: 0
; FloatMode: 240
; IeeeMode: 1
; LDSByteSize: 0 bytes/workgroup (compile time only)
; SGPRBlocks: 0
; VGPRBlocks: 3
; NumSGPRsForWavesPerEU: 36
; NumVGPRsForWavesPerEU: 51
; NamedBarCnt: 0
; Occupancy: 16
; WaveLimiterHint : 1
; COMPUTE_PGM_RSRC2:SCRATCH_EN: 1
; COMPUTE_PGM_RSRC2:USER_SGPR: 2
; COMPUTE_PGM_RSRC2:TRAP_HANDLER: 0
; COMPUTE_PGM_RSRC2:TGID_X_EN: 1
; COMPUTE_PGM_RSRC2:TGID_Y_EN: 0
; COMPUTE_PGM_RSRC2:TGID_Z_EN: 0
; COMPUTE_PGM_RSRC2:TIDIG_COMP_CNT: 0
	.section	.text._Z16wvSplitK_hf_big_I6__halfLi64ELi2ELi16ELi8ELi2ELi1EEviiPKT_S3_PS1_ii,"axG",@progbits,_Z16wvSplitK_hf_big_I6__halfLi64ELi2ELi16ELi8ELi2ELi1EEviiPKT_S3_PS1_ii,comdat
	.protected	_Z16wvSplitK_hf_big_I6__halfLi64ELi2ELi16ELi8ELi2ELi1EEviiPKT_S3_PS1_ii ; -- Begin function _Z16wvSplitK_hf_big_I6__halfLi64ELi2ELi16ELi8ELi2ELi1EEviiPKT_S3_PS1_ii
	.globl	_Z16wvSplitK_hf_big_I6__halfLi64ELi2ELi16ELi8ELi2ELi1EEviiPKT_S3_PS1_ii
	.p2align	8
	.type	_Z16wvSplitK_hf_big_I6__halfLi64ELi2ELi16ELi8ELi2ELi1EEviiPKT_S3_PS1_ii,@function
_Z16wvSplitK_hf_big_I6__halfLi64ELi2ELi16ELi8ELi2ELi1EEviiPKT_S3_PS1_ii: ; @_Z16wvSplitK_hf_big_I6__halfLi64ELi2ELi16ELi8ELi2ELi1EEviiPKT_S3_PS1_ii
; %bb.0:
	s_get_pc_i64 s[2:3]
	s_add_nc_u64 s[2:3], s[2:3], __PRETTY_FUNCTION__._Z16wvSplitK_hf_big_I6__halfLi64ELi2ELi16ELi8ELi2ELi1EEviiPKT_S3_PS1_ii@rel64+4
	s_delay_alu instid0(SALU_CYCLE_1)
	v_dual_mov_b32 v0, 0x4ad :: v_dual_mov_b32 v1, s2
	v_mov_b32_e32 v2, s3
	s_add_nc_u64 s[8:9], s[0:1], 40
	s_get_pc_i64 s[0:1]
	s_add_nc_u64 s[0:1], s[0:1], __assert_fail@rel64+4
	s_mov_b32 s32, 0
	s_swap_pc_i64 s[30:31], s[0:1]
	.section	.rodata,"a",@progbits
	.p2align	6, 0x0
	.amdhsa_kernel _Z16wvSplitK_hf_big_I6__halfLi64ELi2ELi16ELi8ELi2ELi1EEviiPKT_S3_PS1_ii
		.amdhsa_group_segment_fixed_size 0
		.amdhsa_private_segment_fixed_size 64
		.amdhsa_kernarg_size 296
		.amdhsa_user_sgpr_count 2
		.amdhsa_user_sgpr_dispatch_ptr 0
		.amdhsa_user_sgpr_queue_ptr 0
		.amdhsa_user_sgpr_kernarg_segment_ptr 1
		.amdhsa_user_sgpr_dispatch_id 0
		.amdhsa_user_sgpr_kernarg_preload_length 0
		.amdhsa_user_sgpr_kernarg_preload_offset 0
		.amdhsa_user_sgpr_private_segment_size 0
		.amdhsa_wavefront_size32 1
		.amdhsa_uses_dynamic_stack 0
		.amdhsa_enable_private_segment 1
		.amdhsa_system_sgpr_workgroup_id_x 1
		.amdhsa_system_sgpr_workgroup_id_y 0
		.amdhsa_system_sgpr_workgroup_id_z 0
		.amdhsa_system_sgpr_workgroup_info 0
		.amdhsa_system_vgpr_workitem_id 0
		.amdhsa_next_free_vgpr 51
		.amdhsa_next_free_sgpr 34
		.amdhsa_named_barrier_count 0
		.amdhsa_reserve_vcc 1
		.amdhsa_float_round_mode_32 0
		.amdhsa_float_round_mode_16_64 0
		.amdhsa_float_denorm_mode_32 3
		.amdhsa_float_denorm_mode_16_64 3
		.amdhsa_fp16_overflow 0
		.amdhsa_memory_ordered 1
		.amdhsa_forward_progress 1
		.amdhsa_inst_pref_size 1
		.amdhsa_round_robin_scheduling 0
		.amdhsa_exception_fp_ieee_invalid_op 0
		.amdhsa_exception_fp_denorm_src 0
		.amdhsa_exception_fp_ieee_div_zero 0
		.amdhsa_exception_fp_ieee_overflow 0
		.amdhsa_exception_fp_ieee_underflow 0
		.amdhsa_exception_fp_ieee_inexact 0
		.amdhsa_exception_int_div_zero 0
	.end_amdhsa_kernel
	.section	.text._Z16wvSplitK_hf_big_I6__halfLi64ELi2ELi16ELi8ELi2ELi1EEviiPKT_S3_PS1_ii,"axG",@progbits,_Z16wvSplitK_hf_big_I6__halfLi64ELi2ELi16ELi8ELi2ELi1EEviiPKT_S3_PS1_ii,comdat
.Lfunc_end12:
	.size	_Z16wvSplitK_hf_big_I6__halfLi64ELi2ELi16ELi8ELi2ELi1EEviiPKT_S3_PS1_ii, .Lfunc_end12-_Z16wvSplitK_hf_big_I6__halfLi64ELi2ELi16ELi8ELi2ELi1EEviiPKT_S3_PS1_ii
                                        ; -- End function
	.set _Z16wvSplitK_hf_big_I6__halfLi64ELi2ELi16ELi8ELi2ELi1EEviiPKT_S3_PS1_ii.num_vgpr, max(3, .L__assert_fail.num_vgpr)
	.set _Z16wvSplitK_hf_big_I6__halfLi64ELi2ELi16ELi8ELi2ELi1EEviiPKT_S3_PS1_ii.num_agpr, max(0, .L__assert_fail.num_agpr)
	.set _Z16wvSplitK_hf_big_I6__halfLi64ELi2ELi16ELi8ELi2ELi1EEviiPKT_S3_PS1_ii.numbered_sgpr, max(33, .L__assert_fail.numbered_sgpr)
	.set _Z16wvSplitK_hf_big_I6__halfLi64ELi2ELi16ELi8ELi2ELi1EEviiPKT_S3_PS1_ii.num_named_barrier, max(0, .L__assert_fail.num_named_barrier)
	.set _Z16wvSplitK_hf_big_I6__halfLi64ELi2ELi16ELi8ELi2ELi1EEviiPKT_S3_PS1_ii.private_seg_size, 0+max(.L__assert_fail.private_seg_size)
	.set _Z16wvSplitK_hf_big_I6__halfLi64ELi2ELi16ELi8ELi2ELi1EEviiPKT_S3_PS1_ii.uses_vcc, or(1, .L__assert_fail.uses_vcc)
	.set _Z16wvSplitK_hf_big_I6__halfLi64ELi2ELi16ELi8ELi2ELi1EEviiPKT_S3_PS1_ii.uses_flat_scratch, or(0, .L__assert_fail.uses_flat_scratch)
	.set _Z16wvSplitK_hf_big_I6__halfLi64ELi2ELi16ELi8ELi2ELi1EEviiPKT_S3_PS1_ii.has_dyn_sized_stack, or(0, .L__assert_fail.has_dyn_sized_stack)
	.set _Z16wvSplitK_hf_big_I6__halfLi64ELi2ELi16ELi8ELi2ELi1EEviiPKT_S3_PS1_ii.has_recursion, or(0, .L__assert_fail.has_recursion)
	.set _Z16wvSplitK_hf_big_I6__halfLi64ELi2ELi16ELi8ELi2ELi1EEviiPKT_S3_PS1_ii.has_indirect_call, or(0, .L__assert_fail.has_indirect_call)
	.section	.AMDGPU.csdata,"",@progbits
; Kernel info:
; codeLenInByte = 64
; TotalNumSgprs: 36
; NumVgprs: 51
; ScratchSize: 64
; MemoryBound: 0
; FloatMode: 240
; IeeeMode: 1
; LDSByteSize: 0 bytes/workgroup (compile time only)
; SGPRBlocks: 0
; VGPRBlocks: 3
; NumSGPRsForWavesPerEU: 36
; NumVGPRsForWavesPerEU: 51
; NamedBarCnt: 0
; Occupancy: 16
; WaveLimiterHint : 1
; COMPUTE_PGM_RSRC2:SCRATCH_EN: 1
; COMPUTE_PGM_RSRC2:USER_SGPR: 2
; COMPUTE_PGM_RSRC2:TRAP_HANDLER: 0
; COMPUTE_PGM_RSRC2:TGID_X_EN: 1
; COMPUTE_PGM_RSRC2:TGID_Y_EN: 0
; COMPUTE_PGM_RSRC2:TGID_Z_EN: 0
; COMPUTE_PGM_RSRC2:TIDIG_COMP_CNT: 0
	.section	.text._Z16wvSplitK_hf_sml_I6__halfLi64ELi2ELi16ELi8ELi2ELi2EEviiPKT_S3_PS1_ii,"axG",@progbits,_Z16wvSplitK_hf_sml_I6__halfLi64ELi2ELi16ELi8ELi2ELi2EEviiPKT_S3_PS1_ii,comdat
	.protected	_Z16wvSplitK_hf_sml_I6__halfLi64ELi2ELi16ELi8ELi2ELi2EEviiPKT_S3_PS1_ii ; -- Begin function _Z16wvSplitK_hf_sml_I6__halfLi64ELi2ELi16ELi8ELi2ELi2EEviiPKT_S3_PS1_ii
	.globl	_Z16wvSplitK_hf_sml_I6__halfLi64ELi2ELi16ELi8ELi2ELi2EEviiPKT_S3_PS1_ii
	.p2align	8
	.type	_Z16wvSplitK_hf_sml_I6__halfLi64ELi2ELi16ELi8ELi2ELi2EEviiPKT_S3_PS1_ii,@function
_Z16wvSplitK_hf_sml_I6__halfLi64ELi2ELi16ELi8ELi2ELi2EEviiPKT_S3_PS1_ii: ; @_Z16wvSplitK_hf_sml_I6__halfLi64ELi2ELi16ELi8ELi2ELi2EEviiPKT_S3_PS1_ii
; %bb.0:
	s_get_pc_i64 s[2:3]
	s_add_nc_u64 s[2:3], s[2:3], __PRETTY_FUNCTION__._Z16wvSplitK_hf_sml_I6__halfLi64ELi2ELi16ELi8ELi2ELi2EEviiPKT_S3_PS1_ii@rel64+4
	s_delay_alu instid0(SALU_CYCLE_1)
	v_dual_mov_b32 v0, 0x224 :: v_dual_mov_b32 v1, s2
	v_mov_b32_e32 v2, s3
	s_add_nc_u64 s[8:9], s[0:1], 40
	s_get_pc_i64 s[0:1]
	s_add_nc_u64 s[0:1], s[0:1], __assert_fail@rel64+4
	s_mov_b32 s32, 0
	s_swap_pc_i64 s[30:31], s[0:1]
	.section	.rodata,"a",@progbits
	.p2align	6, 0x0
	.amdhsa_kernel _Z16wvSplitK_hf_sml_I6__halfLi64ELi2ELi16ELi8ELi2ELi2EEviiPKT_S3_PS1_ii
		.amdhsa_group_segment_fixed_size 0
		.amdhsa_private_segment_fixed_size 64
		.amdhsa_kernarg_size 296
		.amdhsa_user_sgpr_count 2
		.amdhsa_user_sgpr_dispatch_ptr 0
		.amdhsa_user_sgpr_queue_ptr 0
		.amdhsa_user_sgpr_kernarg_segment_ptr 1
		.amdhsa_user_sgpr_dispatch_id 0
		.amdhsa_user_sgpr_kernarg_preload_length 0
		.amdhsa_user_sgpr_kernarg_preload_offset 0
		.amdhsa_user_sgpr_private_segment_size 0
		.amdhsa_wavefront_size32 1
		.amdhsa_uses_dynamic_stack 0
		.amdhsa_enable_private_segment 1
		.amdhsa_system_sgpr_workgroup_id_x 1
		.amdhsa_system_sgpr_workgroup_id_y 0
		.amdhsa_system_sgpr_workgroup_id_z 0
		.amdhsa_system_sgpr_workgroup_info 0
		.amdhsa_system_vgpr_workitem_id 0
		.amdhsa_next_free_vgpr 51
		.amdhsa_next_free_sgpr 34
		.amdhsa_named_barrier_count 0
		.amdhsa_reserve_vcc 1
		.amdhsa_float_round_mode_32 0
		.amdhsa_float_round_mode_16_64 0
		.amdhsa_float_denorm_mode_32 3
		.amdhsa_float_denorm_mode_16_64 3
		.amdhsa_fp16_overflow 0
		.amdhsa_memory_ordered 1
		.amdhsa_forward_progress 1
		.amdhsa_inst_pref_size 1
		.amdhsa_round_robin_scheduling 0
		.amdhsa_exception_fp_ieee_invalid_op 0
		.amdhsa_exception_fp_denorm_src 0
		.amdhsa_exception_fp_ieee_div_zero 0
		.amdhsa_exception_fp_ieee_overflow 0
		.amdhsa_exception_fp_ieee_underflow 0
		.amdhsa_exception_fp_ieee_inexact 0
		.amdhsa_exception_int_div_zero 0
	.end_amdhsa_kernel
	.section	.text._Z16wvSplitK_hf_sml_I6__halfLi64ELi2ELi16ELi8ELi2ELi2EEviiPKT_S3_PS1_ii,"axG",@progbits,_Z16wvSplitK_hf_sml_I6__halfLi64ELi2ELi16ELi8ELi2ELi2EEviiPKT_S3_PS1_ii,comdat
.Lfunc_end13:
	.size	_Z16wvSplitK_hf_sml_I6__halfLi64ELi2ELi16ELi8ELi2ELi2EEviiPKT_S3_PS1_ii, .Lfunc_end13-_Z16wvSplitK_hf_sml_I6__halfLi64ELi2ELi16ELi8ELi2ELi2EEviiPKT_S3_PS1_ii
                                        ; -- End function
	.set _Z16wvSplitK_hf_sml_I6__halfLi64ELi2ELi16ELi8ELi2ELi2EEviiPKT_S3_PS1_ii.num_vgpr, max(3, .L__assert_fail.num_vgpr)
	.set _Z16wvSplitK_hf_sml_I6__halfLi64ELi2ELi16ELi8ELi2ELi2EEviiPKT_S3_PS1_ii.num_agpr, max(0, .L__assert_fail.num_agpr)
	.set _Z16wvSplitK_hf_sml_I6__halfLi64ELi2ELi16ELi8ELi2ELi2EEviiPKT_S3_PS1_ii.numbered_sgpr, max(33, .L__assert_fail.numbered_sgpr)
	.set _Z16wvSplitK_hf_sml_I6__halfLi64ELi2ELi16ELi8ELi2ELi2EEviiPKT_S3_PS1_ii.num_named_barrier, max(0, .L__assert_fail.num_named_barrier)
	.set _Z16wvSplitK_hf_sml_I6__halfLi64ELi2ELi16ELi8ELi2ELi2EEviiPKT_S3_PS1_ii.private_seg_size, 0+max(.L__assert_fail.private_seg_size)
	.set _Z16wvSplitK_hf_sml_I6__halfLi64ELi2ELi16ELi8ELi2ELi2EEviiPKT_S3_PS1_ii.uses_vcc, or(1, .L__assert_fail.uses_vcc)
	.set _Z16wvSplitK_hf_sml_I6__halfLi64ELi2ELi16ELi8ELi2ELi2EEviiPKT_S3_PS1_ii.uses_flat_scratch, or(0, .L__assert_fail.uses_flat_scratch)
	.set _Z16wvSplitK_hf_sml_I6__halfLi64ELi2ELi16ELi8ELi2ELi2EEviiPKT_S3_PS1_ii.has_dyn_sized_stack, or(0, .L__assert_fail.has_dyn_sized_stack)
	.set _Z16wvSplitK_hf_sml_I6__halfLi64ELi2ELi16ELi8ELi2ELi2EEviiPKT_S3_PS1_ii.has_recursion, or(0, .L__assert_fail.has_recursion)
	.set _Z16wvSplitK_hf_sml_I6__halfLi64ELi2ELi16ELi8ELi2ELi2EEviiPKT_S3_PS1_ii.has_indirect_call, or(0, .L__assert_fail.has_indirect_call)
	.section	.AMDGPU.csdata,"",@progbits
; Kernel info:
; codeLenInByte = 64
; TotalNumSgprs: 36
; NumVgprs: 51
; ScratchSize: 64
; MemoryBound: 0
; FloatMode: 240
; IeeeMode: 1
; LDSByteSize: 0 bytes/workgroup (compile time only)
; SGPRBlocks: 0
; VGPRBlocks: 3
; NumSGPRsForWavesPerEU: 36
; NumVGPRsForWavesPerEU: 51
; NamedBarCnt: 0
; Occupancy: 16
; WaveLimiterHint : 1
; COMPUTE_PGM_RSRC2:SCRATCH_EN: 1
; COMPUTE_PGM_RSRC2:USER_SGPR: 2
; COMPUTE_PGM_RSRC2:TRAP_HANDLER: 0
; COMPUTE_PGM_RSRC2:TGID_X_EN: 1
; COMPUTE_PGM_RSRC2:TGID_Y_EN: 0
; COMPUTE_PGM_RSRC2:TGID_Z_EN: 0
; COMPUTE_PGM_RSRC2:TIDIG_COMP_CNT: 0
	.section	.text._Z12wvSplitK_hf_I6__halfLi64ELi2ELi16ELi8ELi2ELi2EEviiPKT_S3_PS1_ii,"axG",@progbits,_Z12wvSplitK_hf_I6__halfLi64ELi2ELi16ELi8ELi2ELi2EEviiPKT_S3_PS1_ii,comdat
	.protected	_Z12wvSplitK_hf_I6__halfLi64ELi2ELi16ELi8ELi2ELi2EEviiPKT_S3_PS1_ii ; -- Begin function _Z12wvSplitK_hf_I6__halfLi64ELi2ELi16ELi8ELi2ELi2EEviiPKT_S3_PS1_ii
	.globl	_Z12wvSplitK_hf_I6__halfLi64ELi2ELi16ELi8ELi2ELi2EEviiPKT_S3_PS1_ii
	.p2align	8
	.type	_Z12wvSplitK_hf_I6__halfLi64ELi2ELi16ELi8ELi2ELi2EEviiPKT_S3_PS1_ii,@function
_Z12wvSplitK_hf_I6__halfLi64ELi2ELi16ELi8ELi2ELi2EEviiPKT_S3_PS1_ii: ; @_Z12wvSplitK_hf_I6__halfLi64ELi2ELi16ELi8ELi2ELi2EEviiPKT_S3_PS1_ii
; %bb.0:
	s_get_pc_i64 s[2:3]
	s_add_nc_u64 s[2:3], s[2:3], __PRETTY_FUNCTION__._Z12wvSplitK_hf_I6__halfLi64ELi2ELi16ELi8ELi2ELi2EEviiPKT_S3_PS1_ii@rel64+4
	s_delay_alu instid0(SALU_CYCLE_1)
	v_dual_mov_b32 v0, 0x351 :: v_dual_mov_b32 v1, s2
	v_mov_b32_e32 v2, s3
	s_add_nc_u64 s[8:9], s[0:1], 40
	s_get_pc_i64 s[0:1]
	s_add_nc_u64 s[0:1], s[0:1], __assert_fail@rel64+4
	s_mov_b32 s32, 0
	s_swap_pc_i64 s[30:31], s[0:1]
	.section	.rodata,"a",@progbits
	.p2align	6, 0x0
	.amdhsa_kernel _Z12wvSplitK_hf_I6__halfLi64ELi2ELi16ELi8ELi2ELi2EEviiPKT_S3_PS1_ii
		.amdhsa_group_segment_fixed_size 0
		.amdhsa_private_segment_fixed_size 64
		.amdhsa_kernarg_size 296
		.amdhsa_user_sgpr_count 2
		.amdhsa_user_sgpr_dispatch_ptr 0
		.amdhsa_user_sgpr_queue_ptr 0
		.amdhsa_user_sgpr_kernarg_segment_ptr 1
		.amdhsa_user_sgpr_dispatch_id 0
		.amdhsa_user_sgpr_kernarg_preload_length 0
		.amdhsa_user_sgpr_kernarg_preload_offset 0
		.amdhsa_user_sgpr_private_segment_size 0
		.amdhsa_wavefront_size32 1
		.amdhsa_uses_dynamic_stack 0
		.amdhsa_enable_private_segment 1
		.amdhsa_system_sgpr_workgroup_id_x 1
		.amdhsa_system_sgpr_workgroup_id_y 0
		.amdhsa_system_sgpr_workgroup_id_z 0
		.amdhsa_system_sgpr_workgroup_info 0
		.amdhsa_system_vgpr_workitem_id 0
		.amdhsa_next_free_vgpr 51
		.amdhsa_next_free_sgpr 34
		.amdhsa_named_barrier_count 0
		.amdhsa_reserve_vcc 1
		.amdhsa_float_round_mode_32 0
		.amdhsa_float_round_mode_16_64 0
		.amdhsa_float_denorm_mode_32 3
		.amdhsa_float_denorm_mode_16_64 3
		.amdhsa_fp16_overflow 0
		.amdhsa_memory_ordered 1
		.amdhsa_forward_progress 1
		.amdhsa_inst_pref_size 1
		.amdhsa_round_robin_scheduling 0
		.amdhsa_exception_fp_ieee_invalid_op 0
		.amdhsa_exception_fp_denorm_src 0
		.amdhsa_exception_fp_ieee_div_zero 0
		.amdhsa_exception_fp_ieee_overflow 0
		.amdhsa_exception_fp_ieee_underflow 0
		.amdhsa_exception_fp_ieee_inexact 0
		.amdhsa_exception_int_div_zero 0
	.end_amdhsa_kernel
	.section	.text._Z12wvSplitK_hf_I6__halfLi64ELi2ELi16ELi8ELi2ELi2EEviiPKT_S3_PS1_ii,"axG",@progbits,_Z12wvSplitK_hf_I6__halfLi64ELi2ELi16ELi8ELi2ELi2EEviiPKT_S3_PS1_ii,comdat
.Lfunc_end14:
	.size	_Z12wvSplitK_hf_I6__halfLi64ELi2ELi16ELi8ELi2ELi2EEviiPKT_S3_PS1_ii, .Lfunc_end14-_Z12wvSplitK_hf_I6__halfLi64ELi2ELi16ELi8ELi2ELi2EEviiPKT_S3_PS1_ii
                                        ; -- End function
	.set _Z12wvSplitK_hf_I6__halfLi64ELi2ELi16ELi8ELi2ELi2EEviiPKT_S3_PS1_ii.num_vgpr, max(3, .L__assert_fail.num_vgpr)
	.set _Z12wvSplitK_hf_I6__halfLi64ELi2ELi16ELi8ELi2ELi2EEviiPKT_S3_PS1_ii.num_agpr, max(0, .L__assert_fail.num_agpr)
	.set _Z12wvSplitK_hf_I6__halfLi64ELi2ELi16ELi8ELi2ELi2EEviiPKT_S3_PS1_ii.numbered_sgpr, max(33, .L__assert_fail.numbered_sgpr)
	.set _Z12wvSplitK_hf_I6__halfLi64ELi2ELi16ELi8ELi2ELi2EEviiPKT_S3_PS1_ii.num_named_barrier, max(0, .L__assert_fail.num_named_barrier)
	.set _Z12wvSplitK_hf_I6__halfLi64ELi2ELi16ELi8ELi2ELi2EEviiPKT_S3_PS1_ii.private_seg_size, 0+max(.L__assert_fail.private_seg_size)
	.set _Z12wvSplitK_hf_I6__halfLi64ELi2ELi16ELi8ELi2ELi2EEviiPKT_S3_PS1_ii.uses_vcc, or(1, .L__assert_fail.uses_vcc)
	.set _Z12wvSplitK_hf_I6__halfLi64ELi2ELi16ELi8ELi2ELi2EEviiPKT_S3_PS1_ii.uses_flat_scratch, or(0, .L__assert_fail.uses_flat_scratch)
	.set _Z12wvSplitK_hf_I6__halfLi64ELi2ELi16ELi8ELi2ELi2EEviiPKT_S3_PS1_ii.has_dyn_sized_stack, or(0, .L__assert_fail.has_dyn_sized_stack)
	.set _Z12wvSplitK_hf_I6__halfLi64ELi2ELi16ELi8ELi2ELi2EEviiPKT_S3_PS1_ii.has_recursion, or(0, .L__assert_fail.has_recursion)
	.set _Z12wvSplitK_hf_I6__halfLi64ELi2ELi16ELi8ELi2ELi2EEviiPKT_S3_PS1_ii.has_indirect_call, or(0, .L__assert_fail.has_indirect_call)
	.section	.AMDGPU.csdata,"",@progbits
; Kernel info:
; codeLenInByte = 64
; TotalNumSgprs: 36
; NumVgprs: 51
; ScratchSize: 64
; MemoryBound: 0
; FloatMode: 240
; IeeeMode: 1
; LDSByteSize: 0 bytes/workgroup (compile time only)
; SGPRBlocks: 0
; VGPRBlocks: 3
; NumSGPRsForWavesPerEU: 36
; NumVGPRsForWavesPerEU: 51
; NamedBarCnt: 0
; Occupancy: 16
; WaveLimiterHint : 1
; COMPUTE_PGM_RSRC2:SCRATCH_EN: 1
; COMPUTE_PGM_RSRC2:USER_SGPR: 2
; COMPUTE_PGM_RSRC2:TRAP_HANDLER: 0
; COMPUTE_PGM_RSRC2:TGID_X_EN: 1
; COMPUTE_PGM_RSRC2:TGID_Y_EN: 0
; COMPUTE_PGM_RSRC2:TGID_Z_EN: 0
; COMPUTE_PGM_RSRC2:TIDIG_COMP_CNT: 0
	.section	.text._Z16wvSplitK_hf_big_I6__halfLi64ELi2ELi16ELi8ELi2ELi2EEviiPKT_S3_PS1_ii,"axG",@progbits,_Z16wvSplitK_hf_big_I6__halfLi64ELi2ELi16ELi8ELi2ELi2EEviiPKT_S3_PS1_ii,comdat
	.protected	_Z16wvSplitK_hf_big_I6__halfLi64ELi2ELi16ELi8ELi2ELi2EEviiPKT_S3_PS1_ii ; -- Begin function _Z16wvSplitK_hf_big_I6__halfLi64ELi2ELi16ELi8ELi2ELi2EEviiPKT_S3_PS1_ii
	.globl	_Z16wvSplitK_hf_big_I6__halfLi64ELi2ELi16ELi8ELi2ELi2EEviiPKT_S3_PS1_ii
	.p2align	8
	.type	_Z16wvSplitK_hf_big_I6__halfLi64ELi2ELi16ELi8ELi2ELi2EEviiPKT_S3_PS1_ii,@function
_Z16wvSplitK_hf_big_I6__halfLi64ELi2ELi16ELi8ELi2ELi2EEviiPKT_S3_PS1_ii: ; @_Z16wvSplitK_hf_big_I6__halfLi64ELi2ELi16ELi8ELi2ELi2EEviiPKT_S3_PS1_ii
; %bb.0:
	s_get_pc_i64 s[2:3]
	s_add_nc_u64 s[2:3], s[2:3], __PRETTY_FUNCTION__._Z16wvSplitK_hf_big_I6__halfLi64ELi2ELi16ELi8ELi2ELi2EEviiPKT_S3_PS1_ii@rel64+4
	s_delay_alu instid0(SALU_CYCLE_1)
	v_dual_mov_b32 v0, 0x4ad :: v_dual_mov_b32 v1, s2
	v_mov_b32_e32 v2, s3
	s_add_nc_u64 s[8:9], s[0:1], 40
	s_get_pc_i64 s[0:1]
	s_add_nc_u64 s[0:1], s[0:1], __assert_fail@rel64+4
	s_mov_b32 s32, 0
	s_swap_pc_i64 s[30:31], s[0:1]
	.section	.rodata,"a",@progbits
	.p2align	6, 0x0
	.amdhsa_kernel _Z16wvSplitK_hf_big_I6__halfLi64ELi2ELi16ELi8ELi2ELi2EEviiPKT_S3_PS1_ii
		.amdhsa_group_segment_fixed_size 0
		.amdhsa_private_segment_fixed_size 64
		.amdhsa_kernarg_size 296
		.amdhsa_user_sgpr_count 2
		.amdhsa_user_sgpr_dispatch_ptr 0
		.amdhsa_user_sgpr_queue_ptr 0
		.amdhsa_user_sgpr_kernarg_segment_ptr 1
		.amdhsa_user_sgpr_dispatch_id 0
		.amdhsa_user_sgpr_kernarg_preload_length 0
		.amdhsa_user_sgpr_kernarg_preload_offset 0
		.amdhsa_user_sgpr_private_segment_size 0
		.amdhsa_wavefront_size32 1
		.amdhsa_uses_dynamic_stack 0
		.amdhsa_enable_private_segment 1
		.amdhsa_system_sgpr_workgroup_id_x 1
		.amdhsa_system_sgpr_workgroup_id_y 0
		.amdhsa_system_sgpr_workgroup_id_z 0
		.amdhsa_system_sgpr_workgroup_info 0
		.amdhsa_system_vgpr_workitem_id 0
		.amdhsa_next_free_vgpr 51
		.amdhsa_next_free_sgpr 34
		.amdhsa_named_barrier_count 0
		.amdhsa_reserve_vcc 1
		.amdhsa_float_round_mode_32 0
		.amdhsa_float_round_mode_16_64 0
		.amdhsa_float_denorm_mode_32 3
		.amdhsa_float_denorm_mode_16_64 3
		.amdhsa_fp16_overflow 0
		.amdhsa_memory_ordered 1
		.amdhsa_forward_progress 1
		.amdhsa_inst_pref_size 1
		.amdhsa_round_robin_scheduling 0
		.amdhsa_exception_fp_ieee_invalid_op 0
		.amdhsa_exception_fp_denorm_src 0
		.amdhsa_exception_fp_ieee_div_zero 0
		.amdhsa_exception_fp_ieee_overflow 0
		.amdhsa_exception_fp_ieee_underflow 0
		.amdhsa_exception_fp_ieee_inexact 0
		.amdhsa_exception_int_div_zero 0
	.end_amdhsa_kernel
	.section	.text._Z16wvSplitK_hf_big_I6__halfLi64ELi2ELi16ELi8ELi2ELi2EEviiPKT_S3_PS1_ii,"axG",@progbits,_Z16wvSplitK_hf_big_I6__halfLi64ELi2ELi16ELi8ELi2ELi2EEviiPKT_S3_PS1_ii,comdat
.Lfunc_end15:
	.size	_Z16wvSplitK_hf_big_I6__halfLi64ELi2ELi16ELi8ELi2ELi2EEviiPKT_S3_PS1_ii, .Lfunc_end15-_Z16wvSplitK_hf_big_I6__halfLi64ELi2ELi16ELi8ELi2ELi2EEviiPKT_S3_PS1_ii
                                        ; -- End function
	.set _Z16wvSplitK_hf_big_I6__halfLi64ELi2ELi16ELi8ELi2ELi2EEviiPKT_S3_PS1_ii.num_vgpr, max(3, .L__assert_fail.num_vgpr)
	.set _Z16wvSplitK_hf_big_I6__halfLi64ELi2ELi16ELi8ELi2ELi2EEviiPKT_S3_PS1_ii.num_agpr, max(0, .L__assert_fail.num_agpr)
	.set _Z16wvSplitK_hf_big_I6__halfLi64ELi2ELi16ELi8ELi2ELi2EEviiPKT_S3_PS1_ii.numbered_sgpr, max(33, .L__assert_fail.numbered_sgpr)
	.set _Z16wvSplitK_hf_big_I6__halfLi64ELi2ELi16ELi8ELi2ELi2EEviiPKT_S3_PS1_ii.num_named_barrier, max(0, .L__assert_fail.num_named_barrier)
	.set _Z16wvSplitK_hf_big_I6__halfLi64ELi2ELi16ELi8ELi2ELi2EEviiPKT_S3_PS1_ii.private_seg_size, 0+max(.L__assert_fail.private_seg_size)
	.set _Z16wvSplitK_hf_big_I6__halfLi64ELi2ELi16ELi8ELi2ELi2EEviiPKT_S3_PS1_ii.uses_vcc, or(1, .L__assert_fail.uses_vcc)
	.set _Z16wvSplitK_hf_big_I6__halfLi64ELi2ELi16ELi8ELi2ELi2EEviiPKT_S3_PS1_ii.uses_flat_scratch, or(0, .L__assert_fail.uses_flat_scratch)
	.set _Z16wvSplitK_hf_big_I6__halfLi64ELi2ELi16ELi8ELi2ELi2EEviiPKT_S3_PS1_ii.has_dyn_sized_stack, or(0, .L__assert_fail.has_dyn_sized_stack)
	.set _Z16wvSplitK_hf_big_I6__halfLi64ELi2ELi16ELi8ELi2ELi2EEviiPKT_S3_PS1_ii.has_recursion, or(0, .L__assert_fail.has_recursion)
	.set _Z16wvSplitK_hf_big_I6__halfLi64ELi2ELi16ELi8ELi2ELi2EEviiPKT_S3_PS1_ii.has_indirect_call, or(0, .L__assert_fail.has_indirect_call)
	.section	.AMDGPU.csdata,"",@progbits
; Kernel info:
; codeLenInByte = 64
; TotalNumSgprs: 36
; NumVgprs: 51
; ScratchSize: 64
; MemoryBound: 0
; FloatMode: 240
; IeeeMode: 1
; LDSByteSize: 0 bytes/workgroup (compile time only)
; SGPRBlocks: 0
; VGPRBlocks: 3
; NumSGPRsForWavesPerEU: 36
; NumVGPRsForWavesPerEU: 51
; NamedBarCnt: 0
; Occupancy: 16
; WaveLimiterHint : 1
; COMPUTE_PGM_RSRC2:SCRATCH_EN: 1
; COMPUTE_PGM_RSRC2:USER_SGPR: 2
; COMPUTE_PGM_RSRC2:TRAP_HANDLER: 0
; COMPUTE_PGM_RSRC2:TGID_X_EN: 1
; COMPUTE_PGM_RSRC2:TGID_Y_EN: 0
; COMPUTE_PGM_RSRC2:TGID_Z_EN: 0
; COMPUTE_PGM_RSRC2:TIDIG_COMP_CNT: 0
	.section	.text._Z16wvSplitK_hf_sml_I6__halfLi64ELi4ELi16ELi8ELi1ELi3EEviiPKT_S3_PS1_ii,"axG",@progbits,_Z16wvSplitK_hf_sml_I6__halfLi64ELi4ELi16ELi8ELi1ELi3EEviiPKT_S3_PS1_ii,comdat
	.protected	_Z16wvSplitK_hf_sml_I6__halfLi64ELi4ELi16ELi8ELi1ELi3EEviiPKT_S3_PS1_ii ; -- Begin function _Z16wvSplitK_hf_sml_I6__halfLi64ELi4ELi16ELi8ELi1ELi3EEviiPKT_S3_PS1_ii
	.globl	_Z16wvSplitK_hf_sml_I6__halfLi64ELi4ELi16ELi8ELi1ELi3EEviiPKT_S3_PS1_ii
	.p2align	8
	.type	_Z16wvSplitK_hf_sml_I6__halfLi64ELi4ELi16ELi8ELi1ELi3EEviiPKT_S3_PS1_ii,@function
_Z16wvSplitK_hf_sml_I6__halfLi64ELi4ELi16ELi8ELi1ELi3EEviiPKT_S3_PS1_ii: ; @_Z16wvSplitK_hf_sml_I6__halfLi64ELi4ELi16ELi8ELi1ELi3EEviiPKT_S3_PS1_ii
; %bb.0:
	s_get_pc_i64 s[2:3]
	s_add_nc_u64 s[2:3], s[2:3], __PRETTY_FUNCTION__._Z16wvSplitK_hf_sml_I6__halfLi64ELi4ELi16ELi8ELi1ELi3EEviiPKT_S3_PS1_ii@rel64+4
	s_delay_alu instid0(SALU_CYCLE_1)
	v_dual_mov_b32 v0, 0x224 :: v_dual_mov_b32 v1, s2
	v_mov_b32_e32 v2, s3
	s_add_nc_u64 s[8:9], s[0:1], 40
	s_get_pc_i64 s[0:1]
	s_add_nc_u64 s[0:1], s[0:1], __assert_fail@rel64+4
	s_mov_b32 s32, 0
	s_swap_pc_i64 s[30:31], s[0:1]
	.section	.rodata,"a",@progbits
	.p2align	6, 0x0
	.amdhsa_kernel _Z16wvSplitK_hf_sml_I6__halfLi64ELi4ELi16ELi8ELi1ELi3EEviiPKT_S3_PS1_ii
		.amdhsa_group_segment_fixed_size 0
		.amdhsa_private_segment_fixed_size 64
		.amdhsa_kernarg_size 296
		.amdhsa_user_sgpr_count 2
		.amdhsa_user_sgpr_dispatch_ptr 0
		.amdhsa_user_sgpr_queue_ptr 0
		.amdhsa_user_sgpr_kernarg_segment_ptr 1
		.amdhsa_user_sgpr_dispatch_id 0
		.amdhsa_user_sgpr_kernarg_preload_length 0
		.amdhsa_user_sgpr_kernarg_preload_offset 0
		.amdhsa_user_sgpr_private_segment_size 0
		.amdhsa_wavefront_size32 1
		.amdhsa_uses_dynamic_stack 0
		.amdhsa_enable_private_segment 1
		.amdhsa_system_sgpr_workgroup_id_x 1
		.amdhsa_system_sgpr_workgroup_id_y 0
		.amdhsa_system_sgpr_workgroup_id_z 0
		.amdhsa_system_sgpr_workgroup_info 0
		.amdhsa_system_vgpr_workitem_id 0
		.amdhsa_next_free_vgpr 51
		.amdhsa_next_free_sgpr 34
		.amdhsa_named_barrier_count 0
		.amdhsa_reserve_vcc 1
		.amdhsa_float_round_mode_32 0
		.amdhsa_float_round_mode_16_64 0
		.amdhsa_float_denorm_mode_32 3
		.amdhsa_float_denorm_mode_16_64 3
		.amdhsa_fp16_overflow 0
		.amdhsa_memory_ordered 1
		.amdhsa_forward_progress 1
		.amdhsa_inst_pref_size 1
		.amdhsa_round_robin_scheduling 0
		.amdhsa_exception_fp_ieee_invalid_op 0
		.amdhsa_exception_fp_denorm_src 0
		.amdhsa_exception_fp_ieee_div_zero 0
		.amdhsa_exception_fp_ieee_overflow 0
		.amdhsa_exception_fp_ieee_underflow 0
		.amdhsa_exception_fp_ieee_inexact 0
		.amdhsa_exception_int_div_zero 0
	.end_amdhsa_kernel
	.section	.text._Z16wvSplitK_hf_sml_I6__halfLi64ELi4ELi16ELi8ELi1ELi3EEviiPKT_S3_PS1_ii,"axG",@progbits,_Z16wvSplitK_hf_sml_I6__halfLi64ELi4ELi16ELi8ELi1ELi3EEviiPKT_S3_PS1_ii,comdat
.Lfunc_end16:
	.size	_Z16wvSplitK_hf_sml_I6__halfLi64ELi4ELi16ELi8ELi1ELi3EEviiPKT_S3_PS1_ii, .Lfunc_end16-_Z16wvSplitK_hf_sml_I6__halfLi64ELi4ELi16ELi8ELi1ELi3EEviiPKT_S3_PS1_ii
                                        ; -- End function
	.set _Z16wvSplitK_hf_sml_I6__halfLi64ELi4ELi16ELi8ELi1ELi3EEviiPKT_S3_PS1_ii.num_vgpr, max(3, .L__assert_fail.num_vgpr)
	.set _Z16wvSplitK_hf_sml_I6__halfLi64ELi4ELi16ELi8ELi1ELi3EEviiPKT_S3_PS1_ii.num_agpr, max(0, .L__assert_fail.num_agpr)
	.set _Z16wvSplitK_hf_sml_I6__halfLi64ELi4ELi16ELi8ELi1ELi3EEviiPKT_S3_PS1_ii.numbered_sgpr, max(33, .L__assert_fail.numbered_sgpr)
	.set _Z16wvSplitK_hf_sml_I6__halfLi64ELi4ELi16ELi8ELi1ELi3EEviiPKT_S3_PS1_ii.num_named_barrier, max(0, .L__assert_fail.num_named_barrier)
	.set _Z16wvSplitK_hf_sml_I6__halfLi64ELi4ELi16ELi8ELi1ELi3EEviiPKT_S3_PS1_ii.private_seg_size, 0+max(.L__assert_fail.private_seg_size)
	.set _Z16wvSplitK_hf_sml_I6__halfLi64ELi4ELi16ELi8ELi1ELi3EEviiPKT_S3_PS1_ii.uses_vcc, or(1, .L__assert_fail.uses_vcc)
	.set _Z16wvSplitK_hf_sml_I6__halfLi64ELi4ELi16ELi8ELi1ELi3EEviiPKT_S3_PS1_ii.uses_flat_scratch, or(0, .L__assert_fail.uses_flat_scratch)
	.set _Z16wvSplitK_hf_sml_I6__halfLi64ELi4ELi16ELi8ELi1ELi3EEviiPKT_S3_PS1_ii.has_dyn_sized_stack, or(0, .L__assert_fail.has_dyn_sized_stack)
	.set _Z16wvSplitK_hf_sml_I6__halfLi64ELi4ELi16ELi8ELi1ELi3EEviiPKT_S3_PS1_ii.has_recursion, or(0, .L__assert_fail.has_recursion)
	.set _Z16wvSplitK_hf_sml_I6__halfLi64ELi4ELi16ELi8ELi1ELi3EEviiPKT_S3_PS1_ii.has_indirect_call, or(0, .L__assert_fail.has_indirect_call)
	.section	.AMDGPU.csdata,"",@progbits
; Kernel info:
; codeLenInByte = 64
; TotalNumSgprs: 36
; NumVgprs: 51
; ScratchSize: 64
; MemoryBound: 0
; FloatMode: 240
; IeeeMode: 1
; LDSByteSize: 0 bytes/workgroup (compile time only)
; SGPRBlocks: 0
; VGPRBlocks: 3
; NumSGPRsForWavesPerEU: 36
; NumVGPRsForWavesPerEU: 51
; NamedBarCnt: 0
; Occupancy: 16
; WaveLimiterHint : 1
; COMPUTE_PGM_RSRC2:SCRATCH_EN: 1
; COMPUTE_PGM_RSRC2:USER_SGPR: 2
; COMPUTE_PGM_RSRC2:TRAP_HANDLER: 0
; COMPUTE_PGM_RSRC2:TGID_X_EN: 1
; COMPUTE_PGM_RSRC2:TGID_Y_EN: 0
; COMPUTE_PGM_RSRC2:TGID_Z_EN: 0
; COMPUTE_PGM_RSRC2:TIDIG_COMP_CNT: 0
	.section	.text._Z12wvSplitK_hf_I6__halfLi64ELi7ELi16ELi8ELi1ELi3EEviiPKT_S3_PS1_ii,"axG",@progbits,_Z12wvSplitK_hf_I6__halfLi64ELi7ELi16ELi8ELi1ELi3EEviiPKT_S3_PS1_ii,comdat
	.protected	_Z12wvSplitK_hf_I6__halfLi64ELi7ELi16ELi8ELi1ELi3EEviiPKT_S3_PS1_ii ; -- Begin function _Z12wvSplitK_hf_I6__halfLi64ELi7ELi16ELi8ELi1ELi3EEviiPKT_S3_PS1_ii
	.globl	_Z12wvSplitK_hf_I6__halfLi64ELi7ELi16ELi8ELi1ELi3EEviiPKT_S3_PS1_ii
	.p2align	8
	.type	_Z12wvSplitK_hf_I6__halfLi64ELi7ELi16ELi8ELi1ELi3EEviiPKT_S3_PS1_ii,@function
_Z12wvSplitK_hf_I6__halfLi64ELi7ELi16ELi8ELi1ELi3EEviiPKT_S3_PS1_ii: ; @_Z12wvSplitK_hf_I6__halfLi64ELi7ELi16ELi8ELi1ELi3EEviiPKT_S3_PS1_ii
; %bb.0:
	s_get_pc_i64 s[2:3]
	s_add_nc_u64 s[2:3], s[2:3], __PRETTY_FUNCTION__._Z12wvSplitK_hf_I6__halfLi64ELi7ELi16ELi8ELi1ELi3EEviiPKT_S3_PS1_ii@rel64+4
	s_delay_alu instid0(SALU_CYCLE_1)
	v_dual_mov_b32 v0, 0x351 :: v_dual_mov_b32 v1, s2
	v_mov_b32_e32 v2, s3
	s_add_nc_u64 s[8:9], s[0:1], 40
	s_get_pc_i64 s[0:1]
	s_add_nc_u64 s[0:1], s[0:1], __assert_fail@rel64+4
	s_mov_b32 s32, 0
	s_swap_pc_i64 s[30:31], s[0:1]
	.section	.rodata,"a",@progbits
	.p2align	6, 0x0
	.amdhsa_kernel _Z12wvSplitK_hf_I6__halfLi64ELi7ELi16ELi8ELi1ELi3EEviiPKT_S3_PS1_ii
		.amdhsa_group_segment_fixed_size 0
		.amdhsa_private_segment_fixed_size 64
		.amdhsa_kernarg_size 296
		.amdhsa_user_sgpr_count 2
		.amdhsa_user_sgpr_dispatch_ptr 0
		.amdhsa_user_sgpr_queue_ptr 0
		.amdhsa_user_sgpr_kernarg_segment_ptr 1
		.amdhsa_user_sgpr_dispatch_id 0
		.amdhsa_user_sgpr_kernarg_preload_length 0
		.amdhsa_user_sgpr_kernarg_preload_offset 0
		.amdhsa_user_sgpr_private_segment_size 0
		.amdhsa_wavefront_size32 1
		.amdhsa_uses_dynamic_stack 0
		.amdhsa_enable_private_segment 1
		.amdhsa_system_sgpr_workgroup_id_x 1
		.amdhsa_system_sgpr_workgroup_id_y 0
		.amdhsa_system_sgpr_workgroup_id_z 0
		.amdhsa_system_sgpr_workgroup_info 0
		.amdhsa_system_vgpr_workitem_id 0
		.amdhsa_next_free_vgpr 51
		.amdhsa_next_free_sgpr 34
		.amdhsa_named_barrier_count 0
		.amdhsa_reserve_vcc 1
		.amdhsa_float_round_mode_32 0
		.amdhsa_float_round_mode_16_64 0
		.amdhsa_float_denorm_mode_32 3
		.amdhsa_float_denorm_mode_16_64 3
		.amdhsa_fp16_overflow 0
		.amdhsa_memory_ordered 1
		.amdhsa_forward_progress 1
		.amdhsa_inst_pref_size 1
		.amdhsa_round_robin_scheduling 0
		.amdhsa_exception_fp_ieee_invalid_op 0
		.amdhsa_exception_fp_denorm_src 0
		.amdhsa_exception_fp_ieee_div_zero 0
		.amdhsa_exception_fp_ieee_overflow 0
		.amdhsa_exception_fp_ieee_underflow 0
		.amdhsa_exception_fp_ieee_inexact 0
		.amdhsa_exception_int_div_zero 0
	.end_amdhsa_kernel
	.section	.text._Z12wvSplitK_hf_I6__halfLi64ELi7ELi16ELi8ELi1ELi3EEviiPKT_S3_PS1_ii,"axG",@progbits,_Z12wvSplitK_hf_I6__halfLi64ELi7ELi16ELi8ELi1ELi3EEviiPKT_S3_PS1_ii,comdat
.Lfunc_end17:
	.size	_Z12wvSplitK_hf_I6__halfLi64ELi7ELi16ELi8ELi1ELi3EEviiPKT_S3_PS1_ii, .Lfunc_end17-_Z12wvSplitK_hf_I6__halfLi64ELi7ELi16ELi8ELi1ELi3EEviiPKT_S3_PS1_ii
                                        ; -- End function
	.set _Z12wvSplitK_hf_I6__halfLi64ELi7ELi16ELi8ELi1ELi3EEviiPKT_S3_PS1_ii.num_vgpr, max(3, .L__assert_fail.num_vgpr)
	.set _Z12wvSplitK_hf_I6__halfLi64ELi7ELi16ELi8ELi1ELi3EEviiPKT_S3_PS1_ii.num_agpr, max(0, .L__assert_fail.num_agpr)
	.set _Z12wvSplitK_hf_I6__halfLi64ELi7ELi16ELi8ELi1ELi3EEviiPKT_S3_PS1_ii.numbered_sgpr, max(33, .L__assert_fail.numbered_sgpr)
	.set _Z12wvSplitK_hf_I6__halfLi64ELi7ELi16ELi8ELi1ELi3EEviiPKT_S3_PS1_ii.num_named_barrier, max(0, .L__assert_fail.num_named_barrier)
	.set _Z12wvSplitK_hf_I6__halfLi64ELi7ELi16ELi8ELi1ELi3EEviiPKT_S3_PS1_ii.private_seg_size, 0+max(.L__assert_fail.private_seg_size)
	.set _Z12wvSplitK_hf_I6__halfLi64ELi7ELi16ELi8ELi1ELi3EEviiPKT_S3_PS1_ii.uses_vcc, or(1, .L__assert_fail.uses_vcc)
	.set _Z12wvSplitK_hf_I6__halfLi64ELi7ELi16ELi8ELi1ELi3EEviiPKT_S3_PS1_ii.uses_flat_scratch, or(0, .L__assert_fail.uses_flat_scratch)
	.set _Z12wvSplitK_hf_I6__halfLi64ELi7ELi16ELi8ELi1ELi3EEviiPKT_S3_PS1_ii.has_dyn_sized_stack, or(0, .L__assert_fail.has_dyn_sized_stack)
	.set _Z12wvSplitK_hf_I6__halfLi64ELi7ELi16ELi8ELi1ELi3EEviiPKT_S3_PS1_ii.has_recursion, or(0, .L__assert_fail.has_recursion)
	.set _Z12wvSplitK_hf_I6__halfLi64ELi7ELi16ELi8ELi1ELi3EEviiPKT_S3_PS1_ii.has_indirect_call, or(0, .L__assert_fail.has_indirect_call)
	.section	.AMDGPU.csdata,"",@progbits
; Kernel info:
; codeLenInByte = 64
; TotalNumSgprs: 36
; NumVgprs: 51
; ScratchSize: 64
; MemoryBound: 0
; FloatMode: 240
; IeeeMode: 1
; LDSByteSize: 0 bytes/workgroup (compile time only)
; SGPRBlocks: 0
; VGPRBlocks: 3
; NumSGPRsForWavesPerEU: 36
; NumVGPRsForWavesPerEU: 51
; NamedBarCnt: 0
; Occupancy: 16
; WaveLimiterHint : 1
; COMPUTE_PGM_RSRC2:SCRATCH_EN: 1
; COMPUTE_PGM_RSRC2:USER_SGPR: 2
; COMPUTE_PGM_RSRC2:TRAP_HANDLER: 0
; COMPUTE_PGM_RSRC2:TGID_X_EN: 1
; COMPUTE_PGM_RSRC2:TGID_Y_EN: 0
; COMPUTE_PGM_RSRC2:TGID_Z_EN: 0
; COMPUTE_PGM_RSRC2:TIDIG_COMP_CNT: 0
	.section	.text._Z16wvSplitK_hf_big_I6__halfLi64ELi7ELi16ELi8ELi1ELi3EEviiPKT_S3_PS1_ii,"axG",@progbits,_Z16wvSplitK_hf_big_I6__halfLi64ELi7ELi16ELi8ELi1ELi3EEviiPKT_S3_PS1_ii,comdat
	.protected	_Z16wvSplitK_hf_big_I6__halfLi64ELi7ELi16ELi8ELi1ELi3EEviiPKT_S3_PS1_ii ; -- Begin function _Z16wvSplitK_hf_big_I6__halfLi64ELi7ELi16ELi8ELi1ELi3EEviiPKT_S3_PS1_ii
	.globl	_Z16wvSplitK_hf_big_I6__halfLi64ELi7ELi16ELi8ELi1ELi3EEviiPKT_S3_PS1_ii
	.p2align	8
	.type	_Z16wvSplitK_hf_big_I6__halfLi64ELi7ELi16ELi8ELi1ELi3EEviiPKT_S3_PS1_ii,@function
_Z16wvSplitK_hf_big_I6__halfLi64ELi7ELi16ELi8ELi1ELi3EEviiPKT_S3_PS1_ii: ; @_Z16wvSplitK_hf_big_I6__halfLi64ELi7ELi16ELi8ELi1ELi3EEviiPKT_S3_PS1_ii
; %bb.0:
	s_get_pc_i64 s[2:3]
	s_add_nc_u64 s[2:3], s[2:3], __PRETTY_FUNCTION__._Z16wvSplitK_hf_big_I6__halfLi64ELi7ELi16ELi8ELi1ELi3EEviiPKT_S3_PS1_ii@rel64+4
	s_delay_alu instid0(SALU_CYCLE_1)
	v_dual_mov_b32 v0, 0x4ad :: v_dual_mov_b32 v1, s2
	v_mov_b32_e32 v2, s3
	s_add_nc_u64 s[8:9], s[0:1], 40
	s_get_pc_i64 s[0:1]
	s_add_nc_u64 s[0:1], s[0:1], __assert_fail@rel64+4
	s_mov_b32 s32, 0
	s_swap_pc_i64 s[30:31], s[0:1]
	.section	.rodata,"a",@progbits
	.p2align	6, 0x0
	.amdhsa_kernel _Z16wvSplitK_hf_big_I6__halfLi64ELi7ELi16ELi8ELi1ELi3EEviiPKT_S3_PS1_ii
		.amdhsa_group_segment_fixed_size 0
		.amdhsa_private_segment_fixed_size 64
		.amdhsa_kernarg_size 296
		.amdhsa_user_sgpr_count 2
		.amdhsa_user_sgpr_dispatch_ptr 0
		.amdhsa_user_sgpr_queue_ptr 0
		.amdhsa_user_sgpr_kernarg_segment_ptr 1
		.amdhsa_user_sgpr_dispatch_id 0
		.amdhsa_user_sgpr_kernarg_preload_length 0
		.amdhsa_user_sgpr_kernarg_preload_offset 0
		.amdhsa_user_sgpr_private_segment_size 0
		.amdhsa_wavefront_size32 1
		.amdhsa_uses_dynamic_stack 0
		.amdhsa_enable_private_segment 1
		.amdhsa_system_sgpr_workgroup_id_x 1
		.amdhsa_system_sgpr_workgroup_id_y 0
		.amdhsa_system_sgpr_workgroup_id_z 0
		.amdhsa_system_sgpr_workgroup_info 0
		.amdhsa_system_vgpr_workitem_id 0
		.amdhsa_next_free_vgpr 51
		.amdhsa_next_free_sgpr 34
		.amdhsa_named_barrier_count 0
		.amdhsa_reserve_vcc 1
		.amdhsa_float_round_mode_32 0
		.amdhsa_float_round_mode_16_64 0
		.amdhsa_float_denorm_mode_32 3
		.amdhsa_float_denorm_mode_16_64 3
		.amdhsa_fp16_overflow 0
		.amdhsa_memory_ordered 1
		.amdhsa_forward_progress 1
		.amdhsa_inst_pref_size 1
		.amdhsa_round_robin_scheduling 0
		.amdhsa_exception_fp_ieee_invalid_op 0
		.amdhsa_exception_fp_denorm_src 0
		.amdhsa_exception_fp_ieee_div_zero 0
		.amdhsa_exception_fp_ieee_overflow 0
		.amdhsa_exception_fp_ieee_underflow 0
		.amdhsa_exception_fp_ieee_inexact 0
		.amdhsa_exception_int_div_zero 0
	.end_amdhsa_kernel
	.section	.text._Z16wvSplitK_hf_big_I6__halfLi64ELi7ELi16ELi8ELi1ELi3EEviiPKT_S3_PS1_ii,"axG",@progbits,_Z16wvSplitK_hf_big_I6__halfLi64ELi7ELi16ELi8ELi1ELi3EEviiPKT_S3_PS1_ii,comdat
.Lfunc_end18:
	.size	_Z16wvSplitK_hf_big_I6__halfLi64ELi7ELi16ELi8ELi1ELi3EEviiPKT_S3_PS1_ii, .Lfunc_end18-_Z16wvSplitK_hf_big_I6__halfLi64ELi7ELi16ELi8ELi1ELi3EEviiPKT_S3_PS1_ii
                                        ; -- End function
	.set _Z16wvSplitK_hf_big_I6__halfLi64ELi7ELi16ELi8ELi1ELi3EEviiPKT_S3_PS1_ii.num_vgpr, max(3, .L__assert_fail.num_vgpr)
	.set _Z16wvSplitK_hf_big_I6__halfLi64ELi7ELi16ELi8ELi1ELi3EEviiPKT_S3_PS1_ii.num_agpr, max(0, .L__assert_fail.num_agpr)
	.set _Z16wvSplitK_hf_big_I6__halfLi64ELi7ELi16ELi8ELi1ELi3EEviiPKT_S3_PS1_ii.numbered_sgpr, max(33, .L__assert_fail.numbered_sgpr)
	.set _Z16wvSplitK_hf_big_I6__halfLi64ELi7ELi16ELi8ELi1ELi3EEviiPKT_S3_PS1_ii.num_named_barrier, max(0, .L__assert_fail.num_named_barrier)
	.set _Z16wvSplitK_hf_big_I6__halfLi64ELi7ELi16ELi8ELi1ELi3EEviiPKT_S3_PS1_ii.private_seg_size, 0+max(.L__assert_fail.private_seg_size)
	.set _Z16wvSplitK_hf_big_I6__halfLi64ELi7ELi16ELi8ELi1ELi3EEviiPKT_S3_PS1_ii.uses_vcc, or(1, .L__assert_fail.uses_vcc)
	.set _Z16wvSplitK_hf_big_I6__halfLi64ELi7ELi16ELi8ELi1ELi3EEviiPKT_S3_PS1_ii.uses_flat_scratch, or(0, .L__assert_fail.uses_flat_scratch)
	.set _Z16wvSplitK_hf_big_I6__halfLi64ELi7ELi16ELi8ELi1ELi3EEviiPKT_S3_PS1_ii.has_dyn_sized_stack, or(0, .L__assert_fail.has_dyn_sized_stack)
	.set _Z16wvSplitK_hf_big_I6__halfLi64ELi7ELi16ELi8ELi1ELi3EEviiPKT_S3_PS1_ii.has_recursion, or(0, .L__assert_fail.has_recursion)
	.set _Z16wvSplitK_hf_big_I6__halfLi64ELi7ELi16ELi8ELi1ELi3EEviiPKT_S3_PS1_ii.has_indirect_call, or(0, .L__assert_fail.has_indirect_call)
	.section	.AMDGPU.csdata,"",@progbits
; Kernel info:
; codeLenInByte = 64
; TotalNumSgprs: 36
; NumVgprs: 51
; ScratchSize: 64
; MemoryBound: 0
; FloatMode: 240
; IeeeMode: 1
; LDSByteSize: 0 bytes/workgroup (compile time only)
; SGPRBlocks: 0
; VGPRBlocks: 3
; NumSGPRsForWavesPerEU: 36
; NumVGPRsForWavesPerEU: 51
; NamedBarCnt: 0
; Occupancy: 16
; WaveLimiterHint : 1
; COMPUTE_PGM_RSRC2:SCRATCH_EN: 1
; COMPUTE_PGM_RSRC2:USER_SGPR: 2
; COMPUTE_PGM_RSRC2:TRAP_HANDLER: 0
; COMPUTE_PGM_RSRC2:TGID_X_EN: 1
; COMPUTE_PGM_RSRC2:TGID_Y_EN: 0
; COMPUTE_PGM_RSRC2:TGID_Z_EN: 0
; COMPUTE_PGM_RSRC2:TIDIG_COMP_CNT: 0
	.section	.text._Z16wvSplitK_hf_sml_I6__halfLi64ELi4ELi16ELi8ELi1ELi4EEviiPKT_S3_PS1_ii,"axG",@progbits,_Z16wvSplitK_hf_sml_I6__halfLi64ELi4ELi16ELi8ELi1ELi4EEviiPKT_S3_PS1_ii,comdat
	.protected	_Z16wvSplitK_hf_sml_I6__halfLi64ELi4ELi16ELi8ELi1ELi4EEviiPKT_S3_PS1_ii ; -- Begin function _Z16wvSplitK_hf_sml_I6__halfLi64ELi4ELi16ELi8ELi1ELi4EEviiPKT_S3_PS1_ii
	.globl	_Z16wvSplitK_hf_sml_I6__halfLi64ELi4ELi16ELi8ELi1ELi4EEviiPKT_S3_PS1_ii
	.p2align	8
	.type	_Z16wvSplitK_hf_sml_I6__halfLi64ELi4ELi16ELi8ELi1ELi4EEviiPKT_S3_PS1_ii,@function
_Z16wvSplitK_hf_sml_I6__halfLi64ELi4ELi16ELi8ELi1ELi4EEviiPKT_S3_PS1_ii: ; @_Z16wvSplitK_hf_sml_I6__halfLi64ELi4ELi16ELi8ELi1ELi4EEviiPKT_S3_PS1_ii
; %bb.0:
	s_get_pc_i64 s[2:3]
	s_add_nc_u64 s[2:3], s[2:3], __PRETTY_FUNCTION__._Z16wvSplitK_hf_sml_I6__halfLi64ELi4ELi16ELi8ELi1ELi4EEviiPKT_S3_PS1_ii@rel64+4
	s_delay_alu instid0(SALU_CYCLE_1)
	v_dual_mov_b32 v0, 0x224 :: v_dual_mov_b32 v1, s2
	v_mov_b32_e32 v2, s3
	s_add_nc_u64 s[8:9], s[0:1], 40
	s_get_pc_i64 s[0:1]
	s_add_nc_u64 s[0:1], s[0:1], __assert_fail@rel64+4
	s_mov_b32 s32, 0
	s_swap_pc_i64 s[30:31], s[0:1]
	.section	.rodata,"a",@progbits
	.p2align	6, 0x0
	.amdhsa_kernel _Z16wvSplitK_hf_sml_I6__halfLi64ELi4ELi16ELi8ELi1ELi4EEviiPKT_S3_PS1_ii
		.amdhsa_group_segment_fixed_size 0
		.amdhsa_private_segment_fixed_size 64
		.amdhsa_kernarg_size 296
		.amdhsa_user_sgpr_count 2
		.amdhsa_user_sgpr_dispatch_ptr 0
		.amdhsa_user_sgpr_queue_ptr 0
		.amdhsa_user_sgpr_kernarg_segment_ptr 1
		.amdhsa_user_sgpr_dispatch_id 0
		.amdhsa_user_sgpr_kernarg_preload_length 0
		.amdhsa_user_sgpr_kernarg_preload_offset 0
		.amdhsa_user_sgpr_private_segment_size 0
		.amdhsa_wavefront_size32 1
		.amdhsa_uses_dynamic_stack 0
		.amdhsa_enable_private_segment 1
		.amdhsa_system_sgpr_workgroup_id_x 1
		.amdhsa_system_sgpr_workgroup_id_y 0
		.amdhsa_system_sgpr_workgroup_id_z 0
		.amdhsa_system_sgpr_workgroup_info 0
		.amdhsa_system_vgpr_workitem_id 0
		.amdhsa_next_free_vgpr 51
		.amdhsa_next_free_sgpr 34
		.amdhsa_named_barrier_count 0
		.amdhsa_reserve_vcc 1
		.amdhsa_float_round_mode_32 0
		.amdhsa_float_round_mode_16_64 0
		.amdhsa_float_denorm_mode_32 3
		.amdhsa_float_denorm_mode_16_64 3
		.amdhsa_fp16_overflow 0
		.amdhsa_memory_ordered 1
		.amdhsa_forward_progress 1
		.amdhsa_inst_pref_size 1
		.amdhsa_round_robin_scheduling 0
		.amdhsa_exception_fp_ieee_invalid_op 0
		.amdhsa_exception_fp_denorm_src 0
		.amdhsa_exception_fp_ieee_div_zero 0
		.amdhsa_exception_fp_ieee_overflow 0
		.amdhsa_exception_fp_ieee_underflow 0
		.amdhsa_exception_fp_ieee_inexact 0
		.amdhsa_exception_int_div_zero 0
	.end_amdhsa_kernel
	.section	.text._Z16wvSplitK_hf_sml_I6__halfLi64ELi4ELi16ELi8ELi1ELi4EEviiPKT_S3_PS1_ii,"axG",@progbits,_Z16wvSplitK_hf_sml_I6__halfLi64ELi4ELi16ELi8ELi1ELi4EEviiPKT_S3_PS1_ii,comdat
.Lfunc_end19:
	.size	_Z16wvSplitK_hf_sml_I6__halfLi64ELi4ELi16ELi8ELi1ELi4EEviiPKT_S3_PS1_ii, .Lfunc_end19-_Z16wvSplitK_hf_sml_I6__halfLi64ELi4ELi16ELi8ELi1ELi4EEviiPKT_S3_PS1_ii
                                        ; -- End function
	.set _Z16wvSplitK_hf_sml_I6__halfLi64ELi4ELi16ELi8ELi1ELi4EEviiPKT_S3_PS1_ii.num_vgpr, max(3, .L__assert_fail.num_vgpr)
	.set _Z16wvSplitK_hf_sml_I6__halfLi64ELi4ELi16ELi8ELi1ELi4EEviiPKT_S3_PS1_ii.num_agpr, max(0, .L__assert_fail.num_agpr)
	.set _Z16wvSplitK_hf_sml_I6__halfLi64ELi4ELi16ELi8ELi1ELi4EEviiPKT_S3_PS1_ii.numbered_sgpr, max(33, .L__assert_fail.numbered_sgpr)
	.set _Z16wvSplitK_hf_sml_I6__halfLi64ELi4ELi16ELi8ELi1ELi4EEviiPKT_S3_PS1_ii.num_named_barrier, max(0, .L__assert_fail.num_named_barrier)
	.set _Z16wvSplitK_hf_sml_I6__halfLi64ELi4ELi16ELi8ELi1ELi4EEviiPKT_S3_PS1_ii.private_seg_size, 0+max(.L__assert_fail.private_seg_size)
	.set _Z16wvSplitK_hf_sml_I6__halfLi64ELi4ELi16ELi8ELi1ELi4EEviiPKT_S3_PS1_ii.uses_vcc, or(1, .L__assert_fail.uses_vcc)
	.set _Z16wvSplitK_hf_sml_I6__halfLi64ELi4ELi16ELi8ELi1ELi4EEviiPKT_S3_PS1_ii.uses_flat_scratch, or(0, .L__assert_fail.uses_flat_scratch)
	.set _Z16wvSplitK_hf_sml_I6__halfLi64ELi4ELi16ELi8ELi1ELi4EEviiPKT_S3_PS1_ii.has_dyn_sized_stack, or(0, .L__assert_fail.has_dyn_sized_stack)
	.set _Z16wvSplitK_hf_sml_I6__halfLi64ELi4ELi16ELi8ELi1ELi4EEviiPKT_S3_PS1_ii.has_recursion, or(0, .L__assert_fail.has_recursion)
	.set _Z16wvSplitK_hf_sml_I6__halfLi64ELi4ELi16ELi8ELi1ELi4EEviiPKT_S3_PS1_ii.has_indirect_call, or(0, .L__assert_fail.has_indirect_call)
	.section	.AMDGPU.csdata,"",@progbits
; Kernel info:
; codeLenInByte = 64
; TotalNumSgprs: 36
; NumVgprs: 51
; ScratchSize: 64
; MemoryBound: 0
; FloatMode: 240
; IeeeMode: 1
; LDSByteSize: 0 bytes/workgroup (compile time only)
; SGPRBlocks: 0
; VGPRBlocks: 3
; NumSGPRsForWavesPerEU: 36
; NumVGPRsForWavesPerEU: 51
; NamedBarCnt: 0
; Occupancy: 16
; WaveLimiterHint : 1
; COMPUTE_PGM_RSRC2:SCRATCH_EN: 1
; COMPUTE_PGM_RSRC2:USER_SGPR: 2
; COMPUTE_PGM_RSRC2:TRAP_HANDLER: 0
; COMPUTE_PGM_RSRC2:TGID_X_EN: 1
; COMPUTE_PGM_RSRC2:TGID_Y_EN: 0
; COMPUTE_PGM_RSRC2:TGID_Z_EN: 0
; COMPUTE_PGM_RSRC2:TIDIG_COMP_CNT: 0
	.section	.text._Z12wvSplitK_hf_I6__halfLi64ELi7ELi16ELi8ELi1ELi4EEviiPKT_S3_PS1_ii,"axG",@progbits,_Z12wvSplitK_hf_I6__halfLi64ELi7ELi16ELi8ELi1ELi4EEviiPKT_S3_PS1_ii,comdat
	.protected	_Z12wvSplitK_hf_I6__halfLi64ELi7ELi16ELi8ELi1ELi4EEviiPKT_S3_PS1_ii ; -- Begin function _Z12wvSplitK_hf_I6__halfLi64ELi7ELi16ELi8ELi1ELi4EEviiPKT_S3_PS1_ii
	.globl	_Z12wvSplitK_hf_I6__halfLi64ELi7ELi16ELi8ELi1ELi4EEviiPKT_S3_PS1_ii
	.p2align	8
	.type	_Z12wvSplitK_hf_I6__halfLi64ELi7ELi16ELi8ELi1ELi4EEviiPKT_S3_PS1_ii,@function
_Z12wvSplitK_hf_I6__halfLi64ELi7ELi16ELi8ELi1ELi4EEviiPKT_S3_PS1_ii: ; @_Z12wvSplitK_hf_I6__halfLi64ELi7ELi16ELi8ELi1ELi4EEviiPKT_S3_PS1_ii
; %bb.0:
	s_get_pc_i64 s[2:3]
	s_add_nc_u64 s[2:3], s[2:3], __PRETTY_FUNCTION__._Z12wvSplitK_hf_I6__halfLi64ELi7ELi16ELi8ELi1ELi4EEviiPKT_S3_PS1_ii@rel64+4
	s_delay_alu instid0(SALU_CYCLE_1)
	v_dual_mov_b32 v0, 0x351 :: v_dual_mov_b32 v1, s2
	v_mov_b32_e32 v2, s3
	s_add_nc_u64 s[8:9], s[0:1], 40
	s_get_pc_i64 s[0:1]
	s_add_nc_u64 s[0:1], s[0:1], __assert_fail@rel64+4
	s_mov_b32 s32, 0
	s_swap_pc_i64 s[30:31], s[0:1]
	.section	.rodata,"a",@progbits
	.p2align	6, 0x0
	.amdhsa_kernel _Z12wvSplitK_hf_I6__halfLi64ELi7ELi16ELi8ELi1ELi4EEviiPKT_S3_PS1_ii
		.amdhsa_group_segment_fixed_size 0
		.amdhsa_private_segment_fixed_size 64
		.amdhsa_kernarg_size 296
		.amdhsa_user_sgpr_count 2
		.amdhsa_user_sgpr_dispatch_ptr 0
		.amdhsa_user_sgpr_queue_ptr 0
		.amdhsa_user_sgpr_kernarg_segment_ptr 1
		.amdhsa_user_sgpr_dispatch_id 0
		.amdhsa_user_sgpr_kernarg_preload_length 0
		.amdhsa_user_sgpr_kernarg_preload_offset 0
		.amdhsa_user_sgpr_private_segment_size 0
		.amdhsa_wavefront_size32 1
		.amdhsa_uses_dynamic_stack 0
		.amdhsa_enable_private_segment 1
		.amdhsa_system_sgpr_workgroup_id_x 1
		.amdhsa_system_sgpr_workgroup_id_y 0
		.amdhsa_system_sgpr_workgroup_id_z 0
		.amdhsa_system_sgpr_workgroup_info 0
		.amdhsa_system_vgpr_workitem_id 0
		.amdhsa_next_free_vgpr 51
		.amdhsa_next_free_sgpr 34
		.amdhsa_named_barrier_count 0
		.amdhsa_reserve_vcc 1
		.amdhsa_float_round_mode_32 0
		.amdhsa_float_round_mode_16_64 0
		.amdhsa_float_denorm_mode_32 3
		.amdhsa_float_denorm_mode_16_64 3
		.amdhsa_fp16_overflow 0
		.amdhsa_memory_ordered 1
		.amdhsa_forward_progress 1
		.amdhsa_inst_pref_size 1
		.amdhsa_round_robin_scheduling 0
		.amdhsa_exception_fp_ieee_invalid_op 0
		.amdhsa_exception_fp_denorm_src 0
		.amdhsa_exception_fp_ieee_div_zero 0
		.amdhsa_exception_fp_ieee_overflow 0
		.amdhsa_exception_fp_ieee_underflow 0
		.amdhsa_exception_fp_ieee_inexact 0
		.amdhsa_exception_int_div_zero 0
	.end_amdhsa_kernel
	.section	.text._Z12wvSplitK_hf_I6__halfLi64ELi7ELi16ELi8ELi1ELi4EEviiPKT_S3_PS1_ii,"axG",@progbits,_Z12wvSplitK_hf_I6__halfLi64ELi7ELi16ELi8ELi1ELi4EEviiPKT_S3_PS1_ii,comdat
.Lfunc_end20:
	.size	_Z12wvSplitK_hf_I6__halfLi64ELi7ELi16ELi8ELi1ELi4EEviiPKT_S3_PS1_ii, .Lfunc_end20-_Z12wvSplitK_hf_I6__halfLi64ELi7ELi16ELi8ELi1ELi4EEviiPKT_S3_PS1_ii
                                        ; -- End function
	.set _Z12wvSplitK_hf_I6__halfLi64ELi7ELi16ELi8ELi1ELi4EEviiPKT_S3_PS1_ii.num_vgpr, max(3, .L__assert_fail.num_vgpr)
	.set _Z12wvSplitK_hf_I6__halfLi64ELi7ELi16ELi8ELi1ELi4EEviiPKT_S3_PS1_ii.num_agpr, max(0, .L__assert_fail.num_agpr)
	.set _Z12wvSplitK_hf_I6__halfLi64ELi7ELi16ELi8ELi1ELi4EEviiPKT_S3_PS1_ii.numbered_sgpr, max(33, .L__assert_fail.numbered_sgpr)
	.set _Z12wvSplitK_hf_I6__halfLi64ELi7ELi16ELi8ELi1ELi4EEviiPKT_S3_PS1_ii.num_named_barrier, max(0, .L__assert_fail.num_named_barrier)
	.set _Z12wvSplitK_hf_I6__halfLi64ELi7ELi16ELi8ELi1ELi4EEviiPKT_S3_PS1_ii.private_seg_size, 0+max(.L__assert_fail.private_seg_size)
	.set _Z12wvSplitK_hf_I6__halfLi64ELi7ELi16ELi8ELi1ELi4EEviiPKT_S3_PS1_ii.uses_vcc, or(1, .L__assert_fail.uses_vcc)
	.set _Z12wvSplitK_hf_I6__halfLi64ELi7ELi16ELi8ELi1ELi4EEviiPKT_S3_PS1_ii.uses_flat_scratch, or(0, .L__assert_fail.uses_flat_scratch)
	.set _Z12wvSplitK_hf_I6__halfLi64ELi7ELi16ELi8ELi1ELi4EEviiPKT_S3_PS1_ii.has_dyn_sized_stack, or(0, .L__assert_fail.has_dyn_sized_stack)
	.set _Z12wvSplitK_hf_I6__halfLi64ELi7ELi16ELi8ELi1ELi4EEviiPKT_S3_PS1_ii.has_recursion, or(0, .L__assert_fail.has_recursion)
	.set _Z12wvSplitK_hf_I6__halfLi64ELi7ELi16ELi8ELi1ELi4EEviiPKT_S3_PS1_ii.has_indirect_call, or(0, .L__assert_fail.has_indirect_call)
	.section	.AMDGPU.csdata,"",@progbits
; Kernel info:
; codeLenInByte = 64
; TotalNumSgprs: 36
; NumVgprs: 51
; ScratchSize: 64
; MemoryBound: 0
; FloatMode: 240
; IeeeMode: 1
; LDSByteSize: 0 bytes/workgroup (compile time only)
; SGPRBlocks: 0
; VGPRBlocks: 3
; NumSGPRsForWavesPerEU: 36
; NumVGPRsForWavesPerEU: 51
; NamedBarCnt: 0
; Occupancy: 16
; WaveLimiterHint : 1
; COMPUTE_PGM_RSRC2:SCRATCH_EN: 1
; COMPUTE_PGM_RSRC2:USER_SGPR: 2
; COMPUTE_PGM_RSRC2:TRAP_HANDLER: 0
; COMPUTE_PGM_RSRC2:TGID_X_EN: 1
; COMPUTE_PGM_RSRC2:TGID_Y_EN: 0
; COMPUTE_PGM_RSRC2:TGID_Z_EN: 0
; COMPUTE_PGM_RSRC2:TIDIG_COMP_CNT: 0
	.section	.text._Z16wvSplitK_hf_big_I6__halfLi64ELi7ELi16ELi8ELi1ELi4EEviiPKT_S3_PS1_ii,"axG",@progbits,_Z16wvSplitK_hf_big_I6__halfLi64ELi7ELi16ELi8ELi1ELi4EEviiPKT_S3_PS1_ii,comdat
	.protected	_Z16wvSplitK_hf_big_I6__halfLi64ELi7ELi16ELi8ELi1ELi4EEviiPKT_S3_PS1_ii ; -- Begin function _Z16wvSplitK_hf_big_I6__halfLi64ELi7ELi16ELi8ELi1ELi4EEviiPKT_S3_PS1_ii
	.globl	_Z16wvSplitK_hf_big_I6__halfLi64ELi7ELi16ELi8ELi1ELi4EEviiPKT_S3_PS1_ii
	.p2align	8
	.type	_Z16wvSplitK_hf_big_I6__halfLi64ELi7ELi16ELi8ELi1ELi4EEviiPKT_S3_PS1_ii,@function
_Z16wvSplitK_hf_big_I6__halfLi64ELi7ELi16ELi8ELi1ELi4EEviiPKT_S3_PS1_ii: ; @_Z16wvSplitK_hf_big_I6__halfLi64ELi7ELi16ELi8ELi1ELi4EEviiPKT_S3_PS1_ii
; %bb.0:
	s_get_pc_i64 s[2:3]
	s_add_nc_u64 s[2:3], s[2:3], __PRETTY_FUNCTION__._Z16wvSplitK_hf_big_I6__halfLi64ELi7ELi16ELi8ELi1ELi4EEviiPKT_S3_PS1_ii@rel64+4
	s_delay_alu instid0(SALU_CYCLE_1)
	v_dual_mov_b32 v0, 0x4ad :: v_dual_mov_b32 v1, s2
	v_mov_b32_e32 v2, s3
	s_add_nc_u64 s[8:9], s[0:1], 40
	s_get_pc_i64 s[0:1]
	s_add_nc_u64 s[0:1], s[0:1], __assert_fail@rel64+4
	s_mov_b32 s32, 0
	s_swap_pc_i64 s[30:31], s[0:1]
	.section	.rodata,"a",@progbits
	.p2align	6, 0x0
	.amdhsa_kernel _Z16wvSplitK_hf_big_I6__halfLi64ELi7ELi16ELi8ELi1ELi4EEviiPKT_S3_PS1_ii
		.amdhsa_group_segment_fixed_size 0
		.amdhsa_private_segment_fixed_size 64
		.amdhsa_kernarg_size 296
		.amdhsa_user_sgpr_count 2
		.amdhsa_user_sgpr_dispatch_ptr 0
		.amdhsa_user_sgpr_queue_ptr 0
		.amdhsa_user_sgpr_kernarg_segment_ptr 1
		.amdhsa_user_sgpr_dispatch_id 0
		.amdhsa_user_sgpr_kernarg_preload_length 0
		.amdhsa_user_sgpr_kernarg_preload_offset 0
		.amdhsa_user_sgpr_private_segment_size 0
		.amdhsa_wavefront_size32 1
		.amdhsa_uses_dynamic_stack 0
		.amdhsa_enable_private_segment 1
		.amdhsa_system_sgpr_workgroup_id_x 1
		.amdhsa_system_sgpr_workgroup_id_y 0
		.amdhsa_system_sgpr_workgroup_id_z 0
		.amdhsa_system_sgpr_workgroup_info 0
		.amdhsa_system_vgpr_workitem_id 0
		.amdhsa_next_free_vgpr 51
		.amdhsa_next_free_sgpr 34
		.amdhsa_named_barrier_count 0
		.amdhsa_reserve_vcc 1
		.amdhsa_float_round_mode_32 0
		.amdhsa_float_round_mode_16_64 0
		.amdhsa_float_denorm_mode_32 3
		.amdhsa_float_denorm_mode_16_64 3
		.amdhsa_fp16_overflow 0
		.amdhsa_memory_ordered 1
		.amdhsa_forward_progress 1
		.amdhsa_inst_pref_size 1
		.amdhsa_round_robin_scheduling 0
		.amdhsa_exception_fp_ieee_invalid_op 0
		.amdhsa_exception_fp_denorm_src 0
		.amdhsa_exception_fp_ieee_div_zero 0
		.amdhsa_exception_fp_ieee_overflow 0
		.amdhsa_exception_fp_ieee_underflow 0
		.amdhsa_exception_fp_ieee_inexact 0
		.amdhsa_exception_int_div_zero 0
	.end_amdhsa_kernel
	.section	.text._Z16wvSplitK_hf_big_I6__halfLi64ELi7ELi16ELi8ELi1ELi4EEviiPKT_S3_PS1_ii,"axG",@progbits,_Z16wvSplitK_hf_big_I6__halfLi64ELi7ELi16ELi8ELi1ELi4EEviiPKT_S3_PS1_ii,comdat
.Lfunc_end21:
	.size	_Z16wvSplitK_hf_big_I6__halfLi64ELi7ELi16ELi8ELi1ELi4EEviiPKT_S3_PS1_ii, .Lfunc_end21-_Z16wvSplitK_hf_big_I6__halfLi64ELi7ELi16ELi8ELi1ELi4EEviiPKT_S3_PS1_ii
                                        ; -- End function
	.set _Z16wvSplitK_hf_big_I6__halfLi64ELi7ELi16ELi8ELi1ELi4EEviiPKT_S3_PS1_ii.num_vgpr, max(3, .L__assert_fail.num_vgpr)
	.set _Z16wvSplitK_hf_big_I6__halfLi64ELi7ELi16ELi8ELi1ELi4EEviiPKT_S3_PS1_ii.num_agpr, max(0, .L__assert_fail.num_agpr)
	.set _Z16wvSplitK_hf_big_I6__halfLi64ELi7ELi16ELi8ELi1ELi4EEviiPKT_S3_PS1_ii.numbered_sgpr, max(33, .L__assert_fail.numbered_sgpr)
	.set _Z16wvSplitK_hf_big_I6__halfLi64ELi7ELi16ELi8ELi1ELi4EEviiPKT_S3_PS1_ii.num_named_barrier, max(0, .L__assert_fail.num_named_barrier)
	.set _Z16wvSplitK_hf_big_I6__halfLi64ELi7ELi16ELi8ELi1ELi4EEviiPKT_S3_PS1_ii.private_seg_size, 0+max(.L__assert_fail.private_seg_size)
	.set _Z16wvSplitK_hf_big_I6__halfLi64ELi7ELi16ELi8ELi1ELi4EEviiPKT_S3_PS1_ii.uses_vcc, or(1, .L__assert_fail.uses_vcc)
	.set _Z16wvSplitK_hf_big_I6__halfLi64ELi7ELi16ELi8ELi1ELi4EEviiPKT_S3_PS1_ii.uses_flat_scratch, or(0, .L__assert_fail.uses_flat_scratch)
	.set _Z16wvSplitK_hf_big_I6__halfLi64ELi7ELi16ELi8ELi1ELi4EEviiPKT_S3_PS1_ii.has_dyn_sized_stack, or(0, .L__assert_fail.has_dyn_sized_stack)
	.set _Z16wvSplitK_hf_big_I6__halfLi64ELi7ELi16ELi8ELi1ELi4EEviiPKT_S3_PS1_ii.has_recursion, or(0, .L__assert_fail.has_recursion)
	.set _Z16wvSplitK_hf_big_I6__halfLi64ELi7ELi16ELi8ELi1ELi4EEviiPKT_S3_PS1_ii.has_indirect_call, or(0, .L__assert_fail.has_indirect_call)
	.section	.AMDGPU.csdata,"",@progbits
; Kernel info:
; codeLenInByte = 64
; TotalNumSgprs: 36
; NumVgprs: 51
; ScratchSize: 64
; MemoryBound: 0
; FloatMode: 240
; IeeeMode: 1
; LDSByteSize: 0 bytes/workgroup (compile time only)
; SGPRBlocks: 0
; VGPRBlocks: 3
; NumSGPRsForWavesPerEU: 36
; NumVGPRsForWavesPerEU: 51
; NamedBarCnt: 0
; Occupancy: 16
; WaveLimiterHint : 1
; COMPUTE_PGM_RSRC2:SCRATCH_EN: 1
; COMPUTE_PGM_RSRC2:USER_SGPR: 2
; COMPUTE_PGM_RSRC2:TRAP_HANDLER: 0
; COMPUTE_PGM_RSRC2:TGID_X_EN: 1
; COMPUTE_PGM_RSRC2:TGID_Y_EN: 0
; COMPUTE_PGM_RSRC2:TGID_Z_EN: 0
; COMPUTE_PGM_RSRC2:TIDIG_COMP_CNT: 0
	.section	.text._Z16wvSplitK_hf_sml_I14__hip_bfloat16Li64ELi2ELi16ELi8ELi2ELi1EEviiPKT_S3_PS1_ii,"axG",@progbits,_Z16wvSplitK_hf_sml_I14__hip_bfloat16Li64ELi2ELi16ELi8ELi2ELi1EEviiPKT_S3_PS1_ii,comdat
	.protected	_Z16wvSplitK_hf_sml_I14__hip_bfloat16Li64ELi2ELi16ELi8ELi2ELi1EEviiPKT_S3_PS1_ii ; -- Begin function _Z16wvSplitK_hf_sml_I14__hip_bfloat16Li64ELi2ELi16ELi8ELi2ELi1EEviiPKT_S3_PS1_ii
	.globl	_Z16wvSplitK_hf_sml_I14__hip_bfloat16Li64ELi2ELi16ELi8ELi2ELi1EEviiPKT_S3_PS1_ii
	.p2align	8
	.type	_Z16wvSplitK_hf_sml_I14__hip_bfloat16Li64ELi2ELi16ELi8ELi2ELi1EEviiPKT_S3_PS1_ii,@function
_Z16wvSplitK_hf_sml_I14__hip_bfloat16Li64ELi2ELi16ELi8ELi2ELi1EEviiPKT_S3_PS1_ii: ; @_Z16wvSplitK_hf_sml_I14__hip_bfloat16Li64ELi2ELi16ELi8ELi2ELi1EEviiPKT_S3_PS1_ii
; %bb.0:
	s_get_pc_i64 s[2:3]
	s_add_nc_u64 s[2:3], s[2:3], __PRETTY_FUNCTION__._Z16wvSplitK_hf_sml_I14__hip_bfloat16Li64ELi2ELi16ELi8ELi2ELi1EEviiPKT_S3_PS1_ii@rel64+4
	s_delay_alu instid0(SALU_CYCLE_1)
	v_dual_mov_b32 v0, 0x224 :: v_dual_mov_b32 v1, s2
	v_mov_b32_e32 v2, s3
	s_add_nc_u64 s[8:9], s[0:1], 40
	s_get_pc_i64 s[0:1]
	s_add_nc_u64 s[0:1], s[0:1], __assert_fail@rel64+4
	s_mov_b32 s32, 0
	s_swap_pc_i64 s[30:31], s[0:1]
	.section	.rodata,"a",@progbits
	.p2align	6, 0x0
	.amdhsa_kernel _Z16wvSplitK_hf_sml_I14__hip_bfloat16Li64ELi2ELi16ELi8ELi2ELi1EEviiPKT_S3_PS1_ii
		.amdhsa_group_segment_fixed_size 0
		.amdhsa_private_segment_fixed_size 64
		.amdhsa_kernarg_size 296
		.amdhsa_user_sgpr_count 2
		.amdhsa_user_sgpr_dispatch_ptr 0
		.amdhsa_user_sgpr_queue_ptr 0
		.amdhsa_user_sgpr_kernarg_segment_ptr 1
		.amdhsa_user_sgpr_dispatch_id 0
		.amdhsa_user_sgpr_kernarg_preload_length 0
		.amdhsa_user_sgpr_kernarg_preload_offset 0
		.amdhsa_user_sgpr_private_segment_size 0
		.amdhsa_wavefront_size32 1
		.amdhsa_uses_dynamic_stack 0
		.amdhsa_enable_private_segment 1
		.amdhsa_system_sgpr_workgroup_id_x 1
		.amdhsa_system_sgpr_workgroup_id_y 0
		.amdhsa_system_sgpr_workgroup_id_z 0
		.amdhsa_system_sgpr_workgroup_info 0
		.amdhsa_system_vgpr_workitem_id 0
		.amdhsa_next_free_vgpr 51
		.amdhsa_next_free_sgpr 34
		.amdhsa_named_barrier_count 0
		.amdhsa_reserve_vcc 1
		.amdhsa_float_round_mode_32 0
		.amdhsa_float_round_mode_16_64 0
		.amdhsa_float_denorm_mode_32 3
		.amdhsa_float_denorm_mode_16_64 3
		.amdhsa_fp16_overflow 0
		.amdhsa_memory_ordered 1
		.amdhsa_forward_progress 1
		.amdhsa_inst_pref_size 1
		.amdhsa_round_robin_scheduling 0
		.amdhsa_exception_fp_ieee_invalid_op 0
		.amdhsa_exception_fp_denorm_src 0
		.amdhsa_exception_fp_ieee_div_zero 0
		.amdhsa_exception_fp_ieee_overflow 0
		.amdhsa_exception_fp_ieee_underflow 0
		.amdhsa_exception_fp_ieee_inexact 0
		.amdhsa_exception_int_div_zero 0
	.end_amdhsa_kernel
	.section	.text._Z16wvSplitK_hf_sml_I14__hip_bfloat16Li64ELi2ELi16ELi8ELi2ELi1EEviiPKT_S3_PS1_ii,"axG",@progbits,_Z16wvSplitK_hf_sml_I14__hip_bfloat16Li64ELi2ELi16ELi8ELi2ELi1EEviiPKT_S3_PS1_ii,comdat
.Lfunc_end22:
	.size	_Z16wvSplitK_hf_sml_I14__hip_bfloat16Li64ELi2ELi16ELi8ELi2ELi1EEviiPKT_S3_PS1_ii, .Lfunc_end22-_Z16wvSplitK_hf_sml_I14__hip_bfloat16Li64ELi2ELi16ELi8ELi2ELi1EEviiPKT_S3_PS1_ii
                                        ; -- End function
	.set _Z16wvSplitK_hf_sml_I14__hip_bfloat16Li64ELi2ELi16ELi8ELi2ELi1EEviiPKT_S3_PS1_ii.num_vgpr, max(3, .L__assert_fail.num_vgpr)
	.set _Z16wvSplitK_hf_sml_I14__hip_bfloat16Li64ELi2ELi16ELi8ELi2ELi1EEviiPKT_S3_PS1_ii.num_agpr, max(0, .L__assert_fail.num_agpr)
	.set _Z16wvSplitK_hf_sml_I14__hip_bfloat16Li64ELi2ELi16ELi8ELi2ELi1EEviiPKT_S3_PS1_ii.numbered_sgpr, max(33, .L__assert_fail.numbered_sgpr)
	.set _Z16wvSplitK_hf_sml_I14__hip_bfloat16Li64ELi2ELi16ELi8ELi2ELi1EEviiPKT_S3_PS1_ii.num_named_barrier, max(0, .L__assert_fail.num_named_barrier)
	.set _Z16wvSplitK_hf_sml_I14__hip_bfloat16Li64ELi2ELi16ELi8ELi2ELi1EEviiPKT_S3_PS1_ii.private_seg_size, 0+max(.L__assert_fail.private_seg_size)
	.set _Z16wvSplitK_hf_sml_I14__hip_bfloat16Li64ELi2ELi16ELi8ELi2ELi1EEviiPKT_S3_PS1_ii.uses_vcc, or(1, .L__assert_fail.uses_vcc)
	.set _Z16wvSplitK_hf_sml_I14__hip_bfloat16Li64ELi2ELi16ELi8ELi2ELi1EEviiPKT_S3_PS1_ii.uses_flat_scratch, or(0, .L__assert_fail.uses_flat_scratch)
	.set _Z16wvSplitK_hf_sml_I14__hip_bfloat16Li64ELi2ELi16ELi8ELi2ELi1EEviiPKT_S3_PS1_ii.has_dyn_sized_stack, or(0, .L__assert_fail.has_dyn_sized_stack)
	.set _Z16wvSplitK_hf_sml_I14__hip_bfloat16Li64ELi2ELi16ELi8ELi2ELi1EEviiPKT_S3_PS1_ii.has_recursion, or(0, .L__assert_fail.has_recursion)
	.set _Z16wvSplitK_hf_sml_I14__hip_bfloat16Li64ELi2ELi16ELi8ELi2ELi1EEviiPKT_S3_PS1_ii.has_indirect_call, or(0, .L__assert_fail.has_indirect_call)
	.section	.AMDGPU.csdata,"",@progbits
; Kernel info:
; codeLenInByte = 64
; TotalNumSgprs: 36
; NumVgprs: 51
; ScratchSize: 64
; MemoryBound: 0
; FloatMode: 240
; IeeeMode: 1
; LDSByteSize: 0 bytes/workgroup (compile time only)
; SGPRBlocks: 0
; VGPRBlocks: 3
; NumSGPRsForWavesPerEU: 36
; NumVGPRsForWavesPerEU: 51
; NamedBarCnt: 0
; Occupancy: 16
; WaveLimiterHint : 1
; COMPUTE_PGM_RSRC2:SCRATCH_EN: 1
; COMPUTE_PGM_RSRC2:USER_SGPR: 2
; COMPUTE_PGM_RSRC2:TRAP_HANDLER: 0
; COMPUTE_PGM_RSRC2:TGID_X_EN: 1
; COMPUTE_PGM_RSRC2:TGID_Y_EN: 0
; COMPUTE_PGM_RSRC2:TGID_Z_EN: 0
; COMPUTE_PGM_RSRC2:TIDIG_COMP_CNT: 0
	.section	.text._Z12wvSplitK_hf_I14__hip_bfloat16Li64ELi2ELi16ELi8ELi2ELi1EEviiPKT_S3_PS1_ii,"axG",@progbits,_Z12wvSplitK_hf_I14__hip_bfloat16Li64ELi2ELi16ELi8ELi2ELi1EEviiPKT_S3_PS1_ii,comdat
	.protected	_Z12wvSplitK_hf_I14__hip_bfloat16Li64ELi2ELi16ELi8ELi2ELi1EEviiPKT_S3_PS1_ii ; -- Begin function _Z12wvSplitK_hf_I14__hip_bfloat16Li64ELi2ELi16ELi8ELi2ELi1EEviiPKT_S3_PS1_ii
	.globl	_Z12wvSplitK_hf_I14__hip_bfloat16Li64ELi2ELi16ELi8ELi2ELi1EEviiPKT_S3_PS1_ii
	.p2align	8
	.type	_Z12wvSplitK_hf_I14__hip_bfloat16Li64ELi2ELi16ELi8ELi2ELi1EEviiPKT_S3_PS1_ii,@function
_Z12wvSplitK_hf_I14__hip_bfloat16Li64ELi2ELi16ELi8ELi2ELi1EEviiPKT_S3_PS1_ii: ; @_Z12wvSplitK_hf_I14__hip_bfloat16Li64ELi2ELi16ELi8ELi2ELi1EEviiPKT_S3_PS1_ii
; %bb.0:
	s_get_pc_i64 s[2:3]
	s_add_nc_u64 s[2:3], s[2:3], __PRETTY_FUNCTION__._Z12wvSplitK_hf_I14__hip_bfloat16Li64ELi2ELi16ELi8ELi2ELi1EEviiPKT_S3_PS1_ii@rel64+4
	s_delay_alu instid0(SALU_CYCLE_1)
	v_dual_mov_b32 v0, 0x351 :: v_dual_mov_b32 v1, s2
	v_mov_b32_e32 v2, s3
	s_add_nc_u64 s[8:9], s[0:1], 40
	s_get_pc_i64 s[0:1]
	s_add_nc_u64 s[0:1], s[0:1], __assert_fail@rel64+4
	s_mov_b32 s32, 0
	s_swap_pc_i64 s[30:31], s[0:1]
	.section	.rodata,"a",@progbits
	.p2align	6, 0x0
	.amdhsa_kernel _Z12wvSplitK_hf_I14__hip_bfloat16Li64ELi2ELi16ELi8ELi2ELi1EEviiPKT_S3_PS1_ii
		.amdhsa_group_segment_fixed_size 0
		.amdhsa_private_segment_fixed_size 64
		.amdhsa_kernarg_size 296
		.amdhsa_user_sgpr_count 2
		.amdhsa_user_sgpr_dispatch_ptr 0
		.amdhsa_user_sgpr_queue_ptr 0
		.amdhsa_user_sgpr_kernarg_segment_ptr 1
		.amdhsa_user_sgpr_dispatch_id 0
		.amdhsa_user_sgpr_kernarg_preload_length 0
		.amdhsa_user_sgpr_kernarg_preload_offset 0
		.amdhsa_user_sgpr_private_segment_size 0
		.amdhsa_wavefront_size32 1
		.amdhsa_uses_dynamic_stack 0
		.amdhsa_enable_private_segment 1
		.amdhsa_system_sgpr_workgroup_id_x 1
		.amdhsa_system_sgpr_workgroup_id_y 0
		.amdhsa_system_sgpr_workgroup_id_z 0
		.amdhsa_system_sgpr_workgroup_info 0
		.amdhsa_system_vgpr_workitem_id 0
		.amdhsa_next_free_vgpr 51
		.amdhsa_next_free_sgpr 34
		.amdhsa_named_barrier_count 0
		.amdhsa_reserve_vcc 1
		.amdhsa_float_round_mode_32 0
		.amdhsa_float_round_mode_16_64 0
		.amdhsa_float_denorm_mode_32 3
		.amdhsa_float_denorm_mode_16_64 3
		.amdhsa_fp16_overflow 0
		.amdhsa_memory_ordered 1
		.amdhsa_forward_progress 1
		.amdhsa_inst_pref_size 1
		.amdhsa_round_robin_scheduling 0
		.amdhsa_exception_fp_ieee_invalid_op 0
		.amdhsa_exception_fp_denorm_src 0
		.amdhsa_exception_fp_ieee_div_zero 0
		.amdhsa_exception_fp_ieee_overflow 0
		.amdhsa_exception_fp_ieee_underflow 0
		.amdhsa_exception_fp_ieee_inexact 0
		.amdhsa_exception_int_div_zero 0
	.end_amdhsa_kernel
	.section	.text._Z12wvSplitK_hf_I14__hip_bfloat16Li64ELi2ELi16ELi8ELi2ELi1EEviiPKT_S3_PS1_ii,"axG",@progbits,_Z12wvSplitK_hf_I14__hip_bfloat16Li64ELi2ELi16ELi8ELi2ELi1EEviiPKT_S3_PS1_ii,comdat
.Lfunc_end23:
	.size	_Z12wvSplitK_hf_I14__hip_bfloat16Li64ELi2ELi16ELi8ELi2ELi1EEviiPKT_S3_PS1_ii, .Lfunc_end23-_Z12wvSplitK_hf_I14__hip_bfloat16Li64ELi2ELi16ELi8ELi2ELi1EEviiPKT_S3_PS1_ii
                                        ; -- End function
	.set _Z12wvSplitK_hf_I14__hip_bfloat16Li64ELi2ELi16ELi8ELi2ELi1EEviiPKT_S3_PS1_ii.num_vgpr, max(3, .L__assert_fail.num_vgpr)
	.set _Z12wvSplitK_hf_I14__hip_bfloat16Li64ELi2ELi16ELi8ELi2ELi1EEviiPKT_S3_PS1_ii.num_agpr, max(0, .L__assert_fail.num_agpr)
	.set _Z12wvSplitK_hf_I14__hip_bfloat16Li64ELi2ELi16ELi8ELi2ELi1EEviiPKT_S3_PS1_ii.numbered_sgpr, max(33, .L__assert_fail.numbered_sgpr)
	.set _Z12wvSplitK_hf_I14__hip_bfloat16Li64ELi2ELi16ELi8ELi2ELi1EEviiPKT_S3_PS1_ii.num_named_barrier, max(0, .L__assert_fail.num_named_barrier)
	.set _Z12wvSplitK_hf_I14__hip_bfloat16Li64ELi2ELi16ELi8ELi2ELi1EEviiPKT_S3_PS1_ii.private_seg_size, 0+max(.L__assert_fail.private_seg_size)
	.set _Z12wvSplitK_hf_I14__hip_bfloat16Li64ELi2ELi16ELi8ELi2ELi1EEviiPKT_S3_PS1_ii.uses_vcc, or(1, .L__assert_fail.uses_vcc)
	.set _Z12wvSplitK_hf_I14__hip_bfloat16Li64ELi2ELi16ELi8ELi2ELi1EEviiPKT_S3_PS1_ii.uses_flat_scratch, or(0, .L__assert_fail.uses_flat_scratch)
	.set _Z12wvSplitK_hf_I14__hip_bfloat16Li64ELi2ELi16ELi8ELi2ELi1EEviiPKT_S3_PS1_ii.has_dyn_sized_stack, or(0, .L__assert_fail.has_dyn_sized_stack)
	.set _Z12wvSplitK_hf_I14__hip_bfloat16Li64ELi2ELi16ELi8ELi2ELi1EEviiPKT_S3_PS1_ii.has_recursion, or(0, .L__assert_fail.has_recursion)
	.set _Z12wvSplitK_hf_I14__hip_bfloat16Li64ELi2ELi16ELi8ELi2ELi1EEviiPKT_S3_PS1_ii.has_indirect_call, or(0, .L__assert_fail.has_indirect_call)
	.section	.AMDGPU.csdata,"",@progbits
; Kernel info:
; codeLenInByte = 64
; TotalNumSgprs: 36
; NumVgprs: 51
; ScratchSize: 64
; MemoryBound: 0
; FloatMode: 240
; IeeeMode: 1
; LDSByteSize: 0 bytes/workgroup (compile time only)
; SGPRBlocks: 0
; VGPRBlocks: 3
; NumSGPRsForWavesPerEU: 36
; NumVGPRsForWavesPerEU: 51
; NamedBarCnt: 0
; Occupancy: 16
; WaveLimiterHint : 1
; COMPUTE_PGM_RSRC2:SCRATCH_EN: 1
; COMPUTE_PGM_RSRC2:USER_SGPR: 2
; COMPUTE_PGM_RSRC2:TRAP_HANDLER: 0
; COMPUTE_PGM_RSRC2:TGID_X_EN: 1
; COMPUTE_PGM_RSRC2:TGID_Y_EN: 0
; COMPUTE_PGM_RSRC2:TGID_Z_EN: 0
; COMPUTE_PGM_RSRC2:TIDIG_COMP_CNT: 0
	.section	.text._Z16wvSplitK_hf_big_I14__hip_bfloat16Li64ELi2ELi16ELi8ELi2ELi1EEviiPKT_S3_PS1_ii,"axG",@progbits,_Z16wvSplitK_hf_big_I14__hip_bfloat16Li64ELi2ELi16ELi8ELi2ELi1EEviiPKT_S3_PS1_ii,comdat
	.protected	_Z16wvSplitK_hf_big_I14__hip_bfloat16Li64ELi2ELi16ELi8ELi2ELi1EEviiPKT_S3_PS1_ii ; -- Begin function _Z16wvSplitK_hf_big_I14__hip_bfloat16Li64ELi2ELi16ELi8ELi2ELi1EEviiPKT_S3_PS1_ii
	.globl	_Z16wvSplitK_hf_big_I14__hip_bfloat16Li64ELi2ELi16ELi8ELi2ELi1EEviiPKT_S3_PS1_ii
	.p2align	8
	.type	_Z16wvSplitK_hf_big_I14__hip_bfloat16Li64ELi2ELi16ELi8ELi2ELi1EEviiPKT_S3_PS1_ii,@function
_Z16wvSplitK_hf_big_I14__hip_bfloat16Li64ELi2ELi16ELi8ELi2ELi1EEviiPKT_S3_PS1_ii: ; @_Z16wvSplitK_hf_big_I14__hip_bfloat16Li64ELi2ELi16ELi8ELi2ELi1EEviiPKT_S3_PS1_ii
; %bb.0:
	s_get_pc_i64 s[2:3]
	s_add_nc_u64 s[2:3], s[2:3], __PRETTY_FUNCTION__._Z16wvSplitK_hf_big_I14__hip_bfloat16Li64ELi2ELi16ELi8ELi2ELi1EEviiPKT_S3_PS1_ii@rel64+4
	s_delay_alu instid0(SALU_CYCLE_1)
	v_dual_mov_b32 v0, 0x4ad :: v_dual_mov_b32 v1, s2
	v_mov_b32_e32 v2, s3
	s_add_nc_u64 s[8:9], s[0:1], 40
	s_get_pc_i64 s[0:1]
	s_add_nc_u64 s[0:1], s[0:1], __assert_fail@rel64+4
	s_mov_b32 s32, 0
	s_swap_pc_i64 s[30:31], s[0:1]
	.section	.rodata,"a",@progbits
	.p2align	6, 0x0
	.amdhsa_kernel _Z16wvSplitK_hf_big_I14__hip_bfloat16Li64ELi2ELi16ELi8ELi2ELi1EEviiPKT_S3_PS1_ii
		.amdhsa_group_segment_fixed_size 0
		.amdhsa_private_segment_fixed_size 64
		.amdhsa_kernarg_size 296
		.amdhsa_user_sgpr_count 2
		.amdhsa_user_sgpr_dispatch_ptr 0
		.amdhsa_user_sgpr_queue_ptr 0
		.amdhsa_user_sgpr_kernarg_segment_ptr 1
		.amdhsa_user_sgpr_dispatch_id 0
		.amdhsa_user_sgpr_kernarg_preload_length 0
		.amdhsa_user_sgpr_kernarg_preload_offset 0
		.amdhsa_user_sgpr_private_segment_size 0
		.amdhsa_wavefront_size32 1
		.amdhsa_uses_dynamic_stack 0
		.amdhsa_enable_private_segment 1
		.amdhsa_system_sgpr_workgroup_id_x 1
		.amdhsa_system_sgpr_workgroup_id_y 0
		.amdhsa_system_sgpr_workgroup_id_z 0
		.amdhsa_system_sgpr_workgroup_info 0
		.amdhsa_system_vgpr_workitem_id 0
		.amdhsa_next_free_vgpr 51
		.amdhsa_next_free_sgpr 34
		.amdhsa_named_barrier_count 0
		.amdhsa_reserve_vcc 1
		.amdhsa_float_round_mode_32 0
		.amdhsa_float_round_mode_16_64 0
		.amdhsa_float_denorm_mode_32 3
		.amdhsa_float_denorm_mode_16_64 3
		.amdhsa_fp16_overflow 0
		.amdhsa_memory_ordered 1
		.amdhsa_forward_progress 1
		.amdhsa_inst_pref_size 1
		.amdhsa_round_robin_scheduling 0
		.amdhsa_exception_fp_ieee_invalid_op 0
		.amdhsa_exception_fp_denorm_src 0
		.amdhsa_exception_fp_ieee_div_zero 0
		.amdhsa_exception_fp_ieee_overflow 0
		.amdhsa_exception_fp_ieee_underflow 0
		.amdhsa_exception_fp_ieee_inexact 0
		.amdhsa_exception_int_div_zero 0
	.end_amdhsa_kernel
	.section	.text._Z16wvSplitK_hf_big_I14__hip_bfloat16Li64ELi2ELi16ELi8ELi2ELi1EEviiPKT_S3_PS1_ii,"axG",@progbits,_Z16wvSplitK_hf_big_I14__hip_bfloat16Li64ELi2ELi16ELi8ELi2ELi1EEviiPKT_S3_PS1_ii,comdat
.Lfunc_end24:
	.size	_Z16wvSplitK_hf_big_I14__hip_bfloat16Li64ELi2ELi16ELi8ELi2ELi1EEviiPKT_S3_PS1_ii, .Lfunc_end24-_Z16wvSplitK_hf_big_I14__hip_bfloat16Li64ELi2ELi16ELi8ELi2ELi1EEviiPKT_S3_PS1_ii
                                        ; -- End function
	.set _Z16wvSplitK_hf_big_I14__hip_bfloat16Li64ELi2ELi16ELi8ELi2ELi1EEviiPKT_S3_PS1_ii.num_vgpr, max(3, .L__assert_fail.num_vgpr)
	.set _Z16wvSplitK_hf_big_I14__hip_bfloat16Li64ELi2ELi16ELi8ELi2ELi1EEviiPKT_S3_PS1_ii.num_agpr, max(0, .L__assert_fail.num_agpr)
	.set _Z16wvSplitK_hf_big_I14__hip_bfloat16Li64ELi2ELi16ELi8ELi2ELi1EEviiPKT_S3_PS1_ii.numbered_sgpr, max(33, .L__assert_fail.numbered_sgpr)
	.set _Z16wvSplitK_hf_big_I14__hip_bfloat16Li64ELi2ELi16ELi8ELi2ELi1EEviiPKT_S3_PS1_ii.num_named_barrier, max(0, .L__assert_fail.num_named_barrier)
	.set _Z16wvSplitK_hf_big_I14__hip_bfloat16Li64ELi2ELi16ELi8ELi2ELi1EEviiPKT_S3_PS1_ii.private_seg_size, 0+max(.L__assert_fail.private_seg_size)
	.set _Z16wvSplitK_hf_big_I14__hip_bfloat16Li64ELi2ELi16ELi8ELi2ELi1EEviiPKT_S3_PS1_ii.uses_vcc, or(1, .L__assert_fail.uses_vcc)
	.set _Z16wvSplitK_hf_big_I14__hip_bfloat16Li64ELi2ELi16ELi8ELi2ELi1EEviiPKT_S3_PS1_ii.uses_flat_scratch, or(0, .L__assert_fail.uses_flat_scratch)
	.set _Z16wvSplitK_hf_big_I14__hip_bfloat16Li64ELi2ELi16ELi8ELi2ELi1EEviiPKT_S3_PS1_ii.has_dyn_sized_stack, or(0, .L__assert_fail.has_dyn_sized_stack)
	.set _Z16wvSplitK_hf_big_I14__hip_bfloat16Li64ELi2ELi16ELi8ELi2ELi1EEviiPKT_S3_PS1_ii.has_recursion, or(0, .L__assert_fail.has_recursion)
	.set _Z16wvSplitK_hf_big_I14__hip_bfloat16Li64ELi2ELi16ELi8ELi2ELi1EEviiPKT_S3_PS1_ii.has_indirect_call, or(0, .L__assert_fail.has_indirect_call)
	.section	.AMDGPU.csdata,"",@progbits
; Kernel info:
; codeLenInByte = 64
; TotalNumSgprs: 36
; NumVgprs: 51
; ScratchSize: 64
; MemoryBound: 0
; FloatMode: 240
; IeeeMode: 1
; LDSByteSize: 0 bytes/workgroup (compile time only)
; SGPRBlocks: 0
; VGPRBlocks: 3
; NumSGPRsForWavesPerEU: 36
; NumVGPRsForWavesPerEU: 51
; NamedBarCnt: 0
; Occupancy: 16
; WaveLimiterHint : 1
; COMPUTE_PGM_RSRC2:SCRATCH_EN: 1
; COMPUTE_PGM_RSRC2:USER_SGPR: 2
; COMPUTE_PGM_RSRC2:TRAP_HANDLER: 0
; COMPUTE_PGM_RSRC2:TGID_X_EN: 1
; COMPUTE_PGM_RSRC2:TGID_Y_EN: 0
; COMPUTE_PGM_RSRC2:TGID_Z_EN: 0
; COMPUTE_PGM_RSRC2:TIDIG_COMP_CNT: 0
	.section	.text._Z16wvSplitK_hf_sml_I14__hip_bfloat16Li64ELi2ELi16ELi8ELi2ELi2EEviiPKT_S3_PS1_ii,"axG",@progbits,_Z16wvSplitK_hf_sml_I14__hip_bfloat16Li64ELi2ELi16ELi8ELi2ELi2EEviiPKT_S3_PS1_ii,comdat
	.protected	_Z16wvSplitK_hf_sml_I14__hip_bfloat16Li64ELi2ELi16ELi8ELi2ELi2EEviiPKT_S3_PS1_ii ; -- Begin function _Z16wvSplitK_hf_sml_I14__hip_bfloat16Li64ELi2ELi16ELi8ELi2ELi2EEviiPKT_S3_PS1_ii
	.globl	_Z16wvSplitK_hf_sml_I14__hip_bfloat16Li64ELi2ELi16ELi8ELi2ELi2EEviiPKT_S3_PS1_ii
	.p2align	8
	.type	_Z16wvSplitK_hf_sml_I14__hip_bfloat16Li64ELi2ELi16ELi8ELi2ELi2EEviiPKT_S3_PS1_ii,@function
_Z16wvSplitK_hf_sml_I14__hip_bfloat16Li64ELi2ELi16ELi8ELi2ELi2EEviiPKT_S3_PS1_ii: ; @_Z16wvSplitK_hf_sml_I14__hip_bfloat16Li64ELi2ELi16ELi8ELi2ELi2EEviiPKT_S3_PS1_ii
; %bb.0:
	s_get_pc_i64 s[2:3]
	s_add_nc_u64 s[2:3], s[2:3], __PRETTY_FUNCTION__._Z16wvSplitK_hf_sml_I14__hip_bfloat16Li64ELi2ELi16ELi8ELi2ELi2EEviiPKT_S3_PS1_ii@rel64+4
	s_delay_alu instid0(SALU_CYCLE_1)
	v_dual_mov_b32 v0, 0x224 :: v_dual_mov_b32 v1, s2
	v_mov_b32_e32 v2, s3
	s_add_nc_u64 s[8:9], s[0:1], 40
	s_get_pc_i64 s[0:1]
	s_add_nc_u64 s[0:1], s[0:1], __assert_fail@rel64+4
	s_mov_b32 s32, 0
	s_swap_pc_i64 s[30:31], s[0:1]
	.section	.rodata,"a",@progbits
	.p2align	6, 0x0
	.amdhsa_kernel _Z16wvSplitK_hf_sml_I14__hip_bfloat16Li64ELi2ELi16ELi8ELi2ELi2EEviiPKT_S3_PS1_ii
		.amdhsa_group_segment_fixed_size 0
		.amdhsa_private_segment_fixed_size 64
		.amdhsa_kernarg_size 296
		.amdhsa_user_sgpr_count 2
		.amdhsa_user_sgpr_dispatch_ptr 0
		.amdhsa_user_sgpr_queue_ptr 0
		.amdhsa_user_sgpr_kernarg_segment_ptr 1
		.amdhsa_user_sgpr_dispatch_id 0
		.amdhsa_user_sgpr_kernarg_preload_length 0
		.amdhsa_user_sgpr_kernarg_preload_offset 0
		.amdhsa_user_sgpr_private_segment_size 0
		.amdhsa_wavefront_size32 1
		.amdhsa_uses_dynamic_stack 0
		.amdhsa_enable_private_segment 1
		.amdhsa_system_sgpr_workgroup_id_x 1
		.amdhsa_system_sgpr_workgroup_id_y 0
		.amdhsa_system_sgpr_workgroup_id_z 0
		.amdhsa_system_sgpr_workgroup_info 0
		.amdhsa_system_vgpr_workitem_id 0
		.amdhsa_next_free_vgpr 51
		.amdhsa_next_free_sgpr 34
		.amdhsa_named_barrier_count 0
		.amdhsa_reserve_vcc 1
		.amdhsa_float_round_mode_32 0
		.amdhsa_float_round_mode_16_64 0
		.amdhsa_float_denorm_mode_32 3
		.amdhsa_float_denorm_mode_16_64 3
		.amdhsa_fp16_overflow 0
		.amdhsa_memory_ordered 1
		.amdhsa_forward_progress 1
		.amdhsa_inst_pref_size 1
		.amdhsa_round_robin_scheduling 0
		.amdhsa_exception_fp_ieee_invalid_op 0
		.amdhsa_exception_fp_denorm_src 0
		.amdhsa_exception_fp_ieee_div_zero 0
		.amdhsa_exception_fp_ieee_overflow 0
		.amdhsa_exception_fp_ieee_underflow 0
		.amdhsa_exception_fp_ieee_inexact 0
		.amdhsa_exception_int_div_zero 0
	.end_amdhsa_kernel
	.section	.text._Z16wvSplitK_hf_sml_I14__hip_bfloat16Li64ELi2ELi16ELi8ELi2ELi2EEviiPKT_S3_PS1_ii,"axG",@progbits,_Z16wvSplitK_hf_sml_I14__hip_bfloat16Li64ELi2ELi16ELi8ELi2ELi2EEviiPKT_S3_PS1_ii,comdat
.Lfunc_end25:
	.size	_Z16wvSplitK_hf_sml_I14__hip_bfloat16Li64ELi2ELi16ELi8ELi2ELi2EEviiPKT_S3_PS1_ii, .Lfunc_end25-_Z16wvSplitK_hf_sml_I14__hip_bfloat16Li64ELi2ELi16ELi8ELi2ELi2EEviiPKT_S3_PS1_ii
                                        ; -- End function
	.set _Z16wvSplitK_hf_sml_I14__hip_bfloat16Li64ELi2ELi16ELi8ELi2ELi2EEviiPKT_S3_PS1_ii.num_vgpr, max(3, .L__assert_fail.num_vgpr)
	.set _Z16wvSplitK_hf_sml_I14__hip_bfloat16Li64ELi2ELi16ELi8ELi2ELi2EEviiPKT_S3_PS1_ii.num_agpr, max(0, .L__assert_fail.num_agpr)
	.set _Z16wvSplitK_hf_sml_I14__hip_bfloat16Li64ELi2ELi16ELi8ELi2ELi2EEviiPKT_S3_PS1_ii.numbered_sgpr, max(33, .L__assert_fail.numbered_sgpr)
	.set _Z16wvSplitK_hf_sml_I14__hip_bfloat16Li64ELi2ELi16ELi8ELi2ELi2EEviiPKT_S3_PS1_ii.num_named_barrier, max(0, .L__assert_fail.num_named_barrier)
	.set _Z16wvSplitK_hf_sml_I14__hip_bfloat16Li64ELi2ELi16ELi8ELi2ELi2EEviiPKT_S3_PS1_ii.private_seg_size, 0+max(.L__assert_fail.private_seg_size)
	.set _Z16wvSplitK_hf_sml_I14__hip_bfloat16Li64ELi2ELi16ELi8ELi2ELi2EEviiPKT_S3_PS1_ii.uses_vcc, or(1, .L__assert_fail.uses_vcc)
	.set _Z16wvSplitK_hf_sml_I14__hip_bfloat16Li64ELi2ELi16ELi8ELi2ELi2EEviiPKT_S3_PS1_ii.uses_flat_scratch, or(0, .L__assert_fail.uses_flat_scratch)
	.set _Z16wvSplitK_hf_sml_I14__hip_bfloat16Li64ELi2ELi16ELi8ELi2ELi2EEviiPKT_S3_PS1_ii.has_dyn_sized_stack, or(0, .L__assert_fail.has_dyn_sized_stack)
	.set _Z16wvSplitK_hf_sml_I14__hip_bfloat16Li64ELi2ELi16ELi8ELi2ELi2EEviiPKT_S3_PS1_ii.has_recursion, or(0, .L__assert_fail.has_recursion)
	.set _Z16wvSplitK_hf_sml_I14__hip_bfloat16Li64ELi2ELi16ELi8ELi2ELi2EEviiPKT_S3_PS1_ii.has_indirect_call, or(0, .L__assert_fail.has_indirect_call)
	.section	.AMDGPU.csdata,"",@progbits
; Kernel info:
; codeLenInByte = 64
; TotalNumSgprs: 36
; NumVgprs: 51
; ScratchSize: 64
; MemoryBound: 0
; FloatMode: 240
; IeeeMode: 1
; LDSByteSize: 0 bytes/workgroup (compile time only)
; SGPRBlocks: 0
; VGPRBlocks: 3
; NumSGPRsForWavesPerEU: 36
; NumVGPRsForWavesPerEU: 51
; NamedBarCnt: 0
; Occupancy: 16
; WaveLimiterHint : 1
; COMPUTE_PGM_RSRC2:SCRATCH_EN: 1
; COMPUTE_PGM_RSRC2:USER_SGPR: 2
; COMPUTE_PGM_RSRC2:TRAP_HANDLER: 0
; COMPUTE_PGM_RSRC2:TGID_X_EN: 1
; COMPUTE_PGM_RSRC2:TGID_Y_EN: 0
; COMPUTE_PGM_RSRC2:TGID_Z_EN: 0
; COMPUTE_PGM_RSRC2:TIDIG_COMP_CNT: 0
	.section	.text._Z12wvSplitK_hf_I14__hip_bfloat16Li64ELi2ELi16ELi8ELi2ELi2EEviiPKT_S3_PS1_ii,"axG",@progbits,_Z12wvSplitK_hf_I14__hip_bfloat16Li64ELi2ELi16ELi8ELi2ELi2EEviiPKT_S3_PS1_ii,comdat
	.protected	_Z12wvSplitK_hf_I14__hip_bfloat16Li64ELi2ELi16ELi8ELi2ELi2EEviiPKT_S3_PS1_ii ; -- Begin function _Z12wvSplitK_hf_I14__hip_bfloat16Li64ELi2ELi16ELi8ELi2ELi2EEviiPKT_S3_PS1_ii
	.globl	_Z12wvSplitK_hf_I14__hip_bfloat16Li64ELi2ELi16ELi8ELi2ELi2EEviiPKT_S3_PS1_ii
	.p2align	8
	.type	_Z12wvSplitK_hf_I14__hip_bfloat16Li64ELi2ELi16ELi8ELi2ELi2EEviiPKT_S3_PS1_ii,@function
_Z12wvSplitK_hf_I14__hip_bfloat16Li64ELi2ELi16ELi8ELi2ELi2EEviiPKT_S3_PS1_ii: ; @_Z12wvSplitK_hf_I14__hip_bfloat16Li64ELi2ELi16ELi8ELi2ELi2EEviiPKT_S3_PS1_ii
; %bb.0:
	s_get_pc_i64 s[2:3]
	s_add_nc_u64 s[2:3], s[2:3], __PRETTY_FUNCTION__._Z12wvSplitK_hf_I14__hip_bfloat16Li64ELi2ELi16ELi8ELi2ELi2EEviiPKT_S3_PS1_ii@rel64+4
	s_delay_alu instid0(SALU_CYCLE_1)
	v_dual_mov_b32 v0, 0x351 :: v_dual_mov_b32 v1, s2
	v_mov_b32_e32 v2, s3
	s_add_nc_u64 s[8:9], s[0:1], 40
	s_get_pc_i64 s[0:1]
	s_add_nc_u64 s[0:1], s[0:1], __assert_fail@rel64+4
	s_mov_b32 s32, 0
	s_swap_pc_i64 s[30:31], s[0:1]
	.section	.rodata,"a",@progbits
	.p2align	6, 0x0
	.amdhsa_kernel _Z12wvSplitK_hf_I14__hip_bfloat16Li64ELi2ELi16ELi8ELi2ELi2EEviiPKT_S3_PS1_ii
		.amdhsa_group_segment_fixed_size 0
		.amdhsa_private_segment_fixed_size 64
		.amdhsa_kernarg_size 296
		.amdhsa_user_sgpr_count 2
		.amdhsa_user_sgpr_dispatch_ptr 0
		.amdhsa_user_sgpr_queue_ptr 0
		.amdhsa_user_sgpr_kernarg_segment_ptr 1
		.amdhsa_user_sgpr_dispatch_id 0
		.amdhsa_user_sgpr_kernarg_preload_length 0
		.amdhsa_user_sgpr_kernarg_preload_offset 0
		.amdhsa_user_sgpr_private_segment_size 0
		.amdhsa_wavefront_size32 1
		.amdhsa_uses_dynamic_stack 0
		.amdhsa_enable_private_segment 1
		.amdhsa_system_sgpr_workgroup_id_x 1
		.amdhsa_system_sgpr_workgroup_id_y 0
		.amdhsa_system_sgpr_workgroup_id_z 0
		.amdhsa_system_sgpr_workgroup_info 0
		.amdhsa_system_vgpr_workitem_id 0
		.amdhsa_next_free_vgpr 51
		.amdhsa_next_free_sgpr 34
		.amdhsa_named_barrier_count 0
		.amdhsa_reserve_vcc 1
		.amdhsa_float_round_mode_32 0
		.amdhsa_float_round_mode_16_64 0
		.amdhsa_float_denorm_mode_32 3
		.amdhsa_float_denorm_mode_16_64 3
		.amdhsa_fp16_overflow 0
		.amdhsa_memory_ordered 1
		.amdhsa_forward_progress 1
		.amdhsa_inst_pref_size 1
		.amdhsa_round_robin_scheduling 0
		.amdhsa_exception_fp_ieee_invalid_op 0
		.amdhsa_exception_fp_denorm_src 0
		.amdhsa_exception_fp_ieee_div_zero 0
		.amdhsa_exception_fp_ieee_overflow 0
		.amdhsa_exception_fp_ieee_underflow 0
		.amdhsa_exception_fp_ieee_inexact 0
		.amdhsa_exception_int_div_zero 0
	.end_amdhsa_kernel
	.section	.text._Z12wvSplitK_hf_I14__hip_bfloat16Li64ELi2ELi16ELi8ELi2ELi2EEviiPKT_S3_PS1_ii,"axG",@progbits,_Z12wvSplitK_hf_I14__hip_bfloat16Li64ELi2ELi16ELi8ELi2ELi2EEviiPKT_S3_PS1_ii,comdat
.Lfunc_end26:
	.size	_Z12wvSplitK_hf_I14__hip_bfloat16Li64ELi2ELi16ELi8ELi2ELi2EEviiPKT_S3_PS1_ii, .Lfunc_end26-_Z12wvSplitK_hf_I14__hip_bfloat16Li64ELi2ELi16ELi8ELi2ELi2EEviiPKT_S3_PS1_ii
                                        ; -- End function
	.set _Z12wvSplitK_hf_I14__hip_bfloat16Li64ELi2ELi16ELi8ELi2ELi2EEviiPKT_S3_PS1_ii.num_vgpr, max(3, .L__assert_fail.num_vgpr)
	.set _Z12wvSplitK_hf_I14__hip_bfloat16Li64ELi2ELi16ELi8ELi2ELi2EEviiPKT_S3_PS1_ii.num_agpr, max(0, .L__assert_fail.num_agpr)
	.set _Z12wvSplitK_hf_I14__hip_bfloat16Li64ELi2ELi16ELi8ELi2ELi2EEviiPKT_S3_PS1_ii.numbered_sgpr, max(33, .L__assert_fail.numbered_sgpr)
	.set _Z12wvSplitK_hf_I14__hip_bfloat16Li64ELi2ELi16ELi8ELi2ELi2EEviiPKT_S3_PS1_ii.num_named_barrier, max(0, .L__assert_fail.num_named_barrier)
	.set _Z12wvSplitK_hf_I14__hip_bfloat16Li64ELi2ELi16ELi8ELi2ELi2EEviiPKT_S3_PS1_ii.private_seg_size, 0+max(.L__assert_fail.private_seg_size)
	.set _Z12wvSplitK_hf_I14__hip_bfloat16Li64ELi2ELi16ELi8ELi2ELi2EEviiPKT_S3_PS1_ii.uses_vcc, or(1, .L__assert_fail.uses_vcc)
	.set _Z12wvSplitK_hf_I14__hip_bfloat16Li64ELi2ELi16ELi8ELi2ELi2EEviiPKT_S3_PS1_ii.uses_flat_scratch, or(0, .L__assert_fail.uses_flat_scratch)
	.set _Z12wvSplitK_hf_I14__hip_bfloat16Li64ELi2ELi16ELi8ELi2ELi2EEviiPKT_S3_PS1_ii.has_dyn_sized_stack, or(0, .L__assert_fail.has_dyn_sized_stack)
	.set _Z12wvSplitK_hf_I14__hip_bfloat16Li64ELi2ELi16ELi8ELi2ELi2EEviiPKT_S3_PS1_ii.has_recursion, or(0, .L__assert_fail.has_recursion)
	.set _Z12wvSplitK_hf_I14__hip_bfloat16Li64ELi2ELi16ELi8ELi2ELi2EEviiPKT_S3_PS1_ii.has_indirect_call, or(0, .L__assert_fail.has_indirect_call)
	.section	.AMDGPU.csdata,"",@progbits
; Kernel info:
; codeLenInByte = 64
; TotalNumSgprs: 36
; NumVgprs: 51
; ScratchSize: 64
; MemoryBound: 0
; FloatMode: 240
; IeeeMode: 1
; LDSByteSize: 0 bytes/workgroup (compile time only)
; SGPRBlocks: 0
; VGPRBlocks: 3
; NumSGPRsForWavesPerEU: 36
; NumVGPRsForWavesPerEU: 51
; NamedBarCnt: 0
; Occupancy: 16
; WaveLimiterHint : 1
; COMPUTE_PGM_RSRC2:SCRATCH_EN: 1
; COMPUTE_PGM_RSRC2:USER_SGPR: 2
; COMPUTE_PGM_RSRC2:TRAP_HANDLER: 0
; COMPUTE_PGM_RSRC2:TGID_X_EN: 1
; COMPUTE_PGM_RSRC2:TGID_Y_EN: 0
; COMPUTE_PGM_RSRC2:TGID_Z_EN: 0
; COMPUTE_PGM_RSRC2:TIDIG_COMP_CNT: 0
	.section	.text._Z16wvSplitK_hf_big_I14__hip_bfloat16Li64ELi2ELi16ELi8ELi2ELi2EEviiPKT_S3_PS1_ii,"axG",@progbits,_Z16wvSplitK_hf_big_I14__hip_bfloat16Li64ELi2ELi16ELi8ELi2ELi2EEviiPKT_S3_PS1_ii,comdat
	.protected	_Z16wvSplitK_hf_big_I14__hip_bfloat16Li64ELi2ELi16ELi8ELi2ELi2EEviiPKT_S3_PS1_ii ; -- Begin function _Z16wvSplitK_hf_big_I14__hip_bfloat16Li64ELi2ELi16ELi8ELi2ELi2EEviiPKT_S3_PS1_ii
	.globl	_Z16wvSplitK_hf_big_I14__hip_bfloat16Li64ELi2ELi16ELi8ELi2ELi2EEviiPKT_S3_PS1_ii
	.p2align	8
	.type	_Z16wvSplitK_hf_big_I14__hip_bfloat16Li64ELi2ELi16ELi8ELi2ELi2EEviiPKT_S3_PS1_ii,@function
_Z16wvSplitK_hf_big_I14__hip_bfloat16Li64ELi2ELi16ELi8ELi2ELi2EEviiPKT_S3_PS1_ii: ; @_Z16wvSplitK_hf_big_I14__hip_bfloat16Li64ELi2ELi16ELi8ELi2ELi2EEviiPKT_S3_PS1_ii
; %bb.0:
	s_get_pc_i64 s[2:3]
	s_add_nc_u64 s[2:3], s[2:3], __PRETTY_FUNCTION__._Z16wvSplitK_hf_big_I14__hip_bfloat16Li64ELi2ELi16ELi8ELi2ELi2EEviiPKT_S3_PS1_ii@rel64+4
	s_delay_alu instid0(SALU_CYCLE_1)
	v_dual_mov_b32 v0, 0x4ad :: v_dual_mov_b32 v1, s2
	v_mov_b32_e32 v2, s3
	s_add_nc_u64 s[8:9], s[0:1], 40
	s_get_pc_i64 s[0:1]
	s_add_nc_u64 s[0:1], s[0:1], __assert_fail@rel64+4
	s_mov_b32 s32, 0
	s_swap_pc_i64 s[30:31], s[0:1]
	.section	.rodata,"a",@progbits
	.p2align	6, 0x0
	.amdhsa_kernel _Z16wvSplitK_hf_big_I14__hip_bfloat16Li64ELi2ELi16ELi8ELi2ELi2EEviiPKT_S3_PS1_ii
		.amdhsa_group_segment_fixed_size 0
		.amdhsa_private_segment_fixed_size 64
		.amdhsa_kernarg_size 296
		.amdhsa_user_sgpr_count 2
		.amdhsa_user_sgpr_dispatch_ptr 0
		.amdhsa_user_sgpr_queue_ptr 0
		.amdhsa_user_sgpr_kernarg_segment_ptr 1
		.amdhsa_user_sgpr_dispatch_id 0
		.amdhsa_user_sgpr_kernarg_preload_length 0
		.amdhsa_user_sgpr_kernarg_preload_offset 0
		.amdhsa_user_sgpr_private_segment_size 0
		.amdhsa_wavefront_size32 1
		.amdhsa_uses_dynamic_stack 0
		.amdhsa_enable_private_segment 1
		.amdhsa_system_sgpr_workgroup_id_x 1
		.amdhsa_system_sgpr_workgroup_id_y 0
		.amdhsa_system_sgpr_workgroup_id_z 0
		.amdhsa_system_sgpr_workgroup_info 0
		.amdhsa_system_vgpr_workitem_id 0
		.amdhsa_next_free_vgpr 51
		.amdhsa_next_free_sgpr 34
		.amdhsa_named_barrier_count 0
		.amdhsa_reserve_vcc 1
		.amdhsa_float_round_mode_32 0
		.amdhsa_float_round_mode_16_64 0
		.amdhsa_float_denorm_mode_32 3
		.amdhsa_float_denorm_mode_16_64 3
		.amdhsa_fp16_overflow 0
		.amdhsa_memory_ordered 1
		.amdhsa_forward_progress 1
		.amdhsa_inst_pref_size 1
		.amdhsa_round_robin_scheduling 0
		.amdhsa_exception_fp_ieee_invalid_op 0
		.amdhsa_exception_fp_denorm_src 0
		.amdhsa_exception_fp_ieee_div_zero 0
		.amdhsa_exception_fp_ieee_overflow 0
		.amdhsa_exception_fp_ieee_underflow 0
		.amdhsa_exception_fp_ieee_inexact 0
		.amdhsa_exception_int_div_zero 0
	.end_amdhsa_kernel
	.section	.text._Z16wvSplitK_hf_big_I14__hip_bfloat16Li64ELi2ELi16ELi8ELi2ELi2EEviiPKT_S3_PS1_ii,"axG",@progbits,_Z16wvSplitK_hf_big_I14__hip_bfloat16Li64ELi2ELi16ELi8ELi2ELi2EEviiPKT_S3_PS1_ii,comdat
.Lfunc_end27:
	.size	_Z16wvSplitK_hf_big_I14__hip_bfloat16Li64ELi2ELi16ELi8ELi2ELi2EEviiPKT_S3_PS1_ii, .Lfunc_end27-_Z16wvSplitK_hf_big_I14__hip_bfloat16Li64ELi2ELi16ELi8ELi2ELi2EEviiPKT_S3_PS1_ii
                                        ; -- End function
	.set _Z16wvSplitK_hf_big_I14__hip_bfloat16Li64ELi2ELi16ELi8ELi2ELi2EEviiPKT_S3_PS1_ii.num_vgpr, max(3, .L__assert_fail.num_vgpr)
	.set _Z16wvSplitK_hf_big_I14__hip_bfloat16Li64ELi2ELi16ELi8ELi2ELi2EEviiPKT_S3_PS1_ii.num_agpr, max(0, .L__assert_fail.num_agpr)
	.set _Z16wvSplitK_hf_big_I14__hip_bfloat16Li64ELi2ELi16ELi8ELi2ELi2EEviiPKT_S3_PS1_ii.numbered_sgpr, max(33, .L__assert_fail.numbered_sgpr)
	.set _Z16wvSplitK_hf_big_I14__hip_bfloat16Li64ELi2ELi16ELi8ELi2ELi2EEviiPKT_S3_PS1_ii.num_named_barrier, max(0, .L__assert_fail.num_named_barrier)
	.set _Z16wvSplitK_hf_big_I14__hip_bfloat16Li64ELi2ELi16ELi8ELi2ELi2EEviiPKT_S3_PS1_ii.private_seg_size, 0+max(.L__assert_fail.private_seg_size)
	.set _Z16wvSplitK_hf_big_I14__hip_bfloat16Li64ELi2ELi16ELi8ELi2ELi2EEviiPKT_S3_PS1_ii.uses_vcc, or(1, .L__assert_fail.uses_vcc)
	.set _Z16wvSplitK_hf_big_I14__hip_bfloat16Li64ELi2ELi16ELi8ELi2ELi2EEviiPKT_S3_PS1_ii.uses_flat_scratch, or(0, .L__assert_fail.uses_flat_scratch)
	.set _Z16wvSplitK_hf_big_I14__hip_bfloat16Li64ELi2ELi16ELi8ELi2ELi2EEviiPKT_S3_PS1_ii.has_dyn_sized_stack, or(0, .L__assert_fail.has_dyn_sized_stack)
	.set _Z16wvSplitK_hf_big_I14__hip_bfloat16Li64ELi2ELi16ELi8ELi2ELi2EEviiPKT_S3_PS1_ii.has_recursion, or(0, .L__assert_fail.has_recursion)
	.set _Z16wvSplitK_hf_big_I14__hip_bfloat16Li64ELi2ELi16ELi8ELi2ELi2EEviiPKT_S3_PS1_ii.has_indirect_call, or(0, .L__assert_fail.has_indirect_call)
	.section	.AMDGPU.csdata,"",@progbits
; Kernel info:
; codeLenInByte = 64
; TotalNumSgprs: 36
; NumVgprs: 51
; ScratchSize: 64
; MemoryBound: 0
; FloatMode: 240
; IeeeMode: 1
; LDSByteSize: 0 bytes/workgroup (compile time only)
; SGPRBlocks: 0
; VGPRBlocks: 3
; NumSGPRsForWavesPerEU: 36
; NumVGPRsForWavesPerEU: 51
; NamedBarCnt: 0
; Occupancy: 16
; WaveLimiterHint : 1
; COMPUTE_PGM_RSRC2:SCRATCH_EN: 1
; COMPUTE_PGM_RSRC2:USER_SGPR: 2
; COMPUTE_PGM_RSRC2:TRAP_HANDLER: 0
; COMPUTE_PGM_RSRC2:TGID_X_EN: 1
; COMPUTE_PGM_RSRC2:TGID_Y_EN: 0
; COMPUTE_PGM_RSRC2:TGID_Z_EN: 0
; COMPUTE_PGM_RSRC2:TIDIG_COMP_CNT: 0
	.section	.text._Z16wvSplitK_hf_sml_I14__hip_bfloat16Li64ELi4ELi16ELi8ELi1ELi3EEviiPKT_S3_PS1_ii,"axG",@progbits,_Z16wvSplitK_hf_sml_I14__hip_bfloat16Li64ELi4ELi16ELi8ELi1ELi3EEviiPKT_S3_PS1_ii,comdat
	.protected	_Z16wvSplitK_hf_sml_I14__hip_bfloat16Li64ELi4ELi16ELi8ELi1ELi3EEviiPKT_S3_PS1_ii ; -- Begin function _Z16wvSplitK_hf_sml_I14__hip_bfloat16Li64ELi4ELi16ELi8ELi1ELi3EEviiPKT_S3_PS1_ii
	.globl	_Z16wvSplitK_hf_sml_I14__hip_bfloat16Li64ELi4ELi16ELi8ELi1ELi3EEviiPKT_S3_PS1_ii
	.p2align	8
	.type	_Z16wvSplitK_hf_sml_I14__hip_bfloat16Li64ELi4ELi16ELi8ELi1ELi3EEviiPKT_S3_PS1_ii,@function
_Z16wvSplitK_hf_sml_I14__hip_bfloat16Li64ELi4ELi16ELi8ELi1ELi3EEviiPKT_S3_PS1_ii: ; @_Z16wvSplitK_hf_sml_I14__hip_bfloat16Li64ELi4ELi16ELi8ELi1ELi3EEviiPKT_S3_PS1_ii
; %bb.0:
	s_get_pc_i64 s[2:3]
	s_add_nc_u64 s[2:3], s[2:3], __PRETTY_FUNCTION__._Z16wvSplitK_hf_sml_I14__hip_bfloat16Li64ELi4ELi16ELi8ELi1ELi3EEviiPKT_S3_PS1_ii@rel64+4
	s_delay_alu instid0(SALU_CYCLE_1)
	v_dual_mov_b32 v0, 0x224 :: v_dual_mov_b32 v1, s2
	v_mov_b32_e32 v2, s3
	s_add_nc_u64 s[8:9], s[0:1], 40
	s_get_pc_i64 s[0:1]
	s_add_nc_u64 s[0:1], s[0:1], __assert_fail@rel64+4
	s_mov_b32 s32, 0
	s_swap_pc_i64 s[30:31], s[0:1]
	.section	.rodata,"a",@progbits
	.p2align	6, 0x0
	.amdhsa_kernel _Z16wvSplitK_hf_sml_I14__hip_bfloat16Li64ELi4ELi16ELi8ELi1ELi3EEviiPKT_S3_PS1_ii
		.amdhsa_group_segment_fixed_size 0
		.amdhsa_private_segment_fixed_size 64
		.amdhsa_kernarg_size 296
		.amdhsa_user_sgpr_count 2
		.amdhsa_user_sgpr_dispatch_ptr 0
		.amdhsa_user_sgpr_queue_ptr 0
		.amdhsa_user_sgpr_kernarg_segment_ptr 1
		.amdhsa_user_sgpr_dispatch_id 0
		.amdhsa_user_sgpr_kernarg_preload_length 0
		.amdhsa_user_sgpr_kernarg_preload_offset 0
		.amdhsa_user_sgpr_private_segment_size 0
		.amdhsa_wavefront_size32 1
		.amdhsa_uses_dynamic_stack 0
		.amdhsa_enable_private_segment 1
		.amdhsa_system_sgpr_workgroup_id_x 1
		.amdhsa_system_sgpr_workgroup_id_y 0
		.amdhsa_system_sgpr_workgroup_id_z 0
		.amdhsa_system_sgpr_workgroup_info 0
		.amdhsa_system_vgpr_workitem_id 0
		.amdhsa_next_free_vgpr 51
		.amdhsa_next_free_sgpr 34
		.amdhsa_named_barrier_count 0
		.amdhsa_reserve_vcc 1
		.amdhsa_float_round_mode_32 0
		.amdhsa_float_round_mode_16_64 0
		.amdhsa_float_denorm_mode_32 3
		.amdhsa_float_denorm_mode_16_64 3
		.amdhsa_fp16_overflow 0
		.amdhsa_memory_ordered 1
		.amdhsa_forward_progress 1
		.amdhsa_inst_pref_size 1
		.amdhsa_round_robin_scheduling 0
		.amdhsa_exception_fp_ieee_invalid_op 0
		.amdhsa_exception_fp_denorm_src 0
		.amdhsa_exception_fp_ieee_div_zero 0
		.amdhsa_exception_fp_ieee_overflow 0
		.amdhsa_exception_fp_ieee_underflow 0
		.amdhsa_exception_fp_ieee_inexact 0
		.amdhsa_exception_int_div_zero 0
	.end_amdhsa_kernel
	.section	.text._Z16wvSplitK_hf_sml_I14__hip_bfloat16Li64ELi4ELi16ELi8ELi1ELi3EEviiPKT_S3_PS1_ii,"axG",@progbits,_Z16wvSplitK_hf_sml_I14__hip_bfloat16Li64ELi4ELi16ELi8ELi1ELi3EEviiPKT_S3_PS1_ii,comdat
.Lfunc_end28:
	.size	_Z16wvSplitK_hf_sml_I14__hip_bfloat16Li64ELi4ELi16ELi8ELi1ELi3EEviiPKT_S3_PS1_ii, .Lfunc_end28-_Z16wvSplitK_hf_sml_I14__hip_bfloat16Li64ELi4ELi16ELi8ELi1ELi3EEviiPKT_S3_PS1_ii
                                        ; -- End function
	.set _Z16wvSplitK_hf_sml_I14__hip_bfloat16Li64ELi4ELi16ELi8ELi1ELi3EEviiPKT_S3_PS1_ii.num_vgpr, max(3, .L__assert_fail.num_vgpr)
	.set _Z16wvSplitK_hf_sml_I14__hip_bfloat16Li64ELi4ELi16ELi8ELi1ELi3EEviiPKT_S3_PS1_ii.num_agpr, max(0, .L__assert_fail.num_agpr)
	.set _Z16wvSplitK_hf_sml_I14__hip_bfloat16Li64ELi4ELi16ELi8ELi1ELi3EEviiPKT_S3_PS1_ii.numbered_sgpr, max(33, .L__assert_fail.numbered_sgpr)
	.set _Z16wvSplitK_hf_sml_I14__hip_bfloat16Li64ELi4ELi16ELi8ELi1ELi3EEviiPKT_S3_PS1_ii.num_named_barrier, max(0, .L__assert_fail.num_named_barrier)
	.set _Z16wvSplitK_hf_sml_I14__hip_bfloat16Li64ELi4ELi16ELi8ELi1ELi3EEviiPKT_S3_PS1_ii.private_seg_size, 0+max(.L__assert_fail.private_seg_size)
	.set _Z16wvSplitK_hf_sml_I14__hip_bfloat16Li64ELi4ELi16ELi8ELi1ELi3EEviiPKT_S3_PS1_ii.uses_vcc, or(1, .L__assert_fail.uses_vcc)
	.set _Z16wvSplitK_hf_sml_I14__hip_bfloat16Li64ELi4ELi16ELi8ELi1ELi3EEviiPKT_S3_PS1_ii.uses_flat_scratch, or(0, .L__assert_fail.uses_flat_scratch)
	.set _Z16wvSplitK_hf_sml_I14__hip_bfloat16Li64ELi4ELi16ELi8ELi1ELi3EEviiPKT_S3_PS1_ii.has_dyn_sized_stack, or(0, .L__assert_fail.has_dyn_sized_stack)
	.set _Z16wvSplitK_hf_sml_I14__hip_bfloat16Li64ELi4ELi16ELi8ELi1ELi3EEviiPKT_S3_PS1_ii.has_recursion, or(0, .L__assert_fail.has_recursion)
	.set _Z16wvSplitK_hf_sml_I14__hip_bfloat16Li64ELi4ELi16ELi8ELi1ELi3EEviiPKT_S3_PS1_ii.has_indirect_call, or(0, .L__assert_fail.has_indirect_call)
	.section	.AMDGPU.csdata,"",@progbits
; Kernel info:
; codeLenInByte = 64
; TotalNumSgprs: 36
; NumVgprs: 51
; ScratchSize: 64
; MemoryBound: 0
; FloatMode: 240
; IeeeMode: 1
; LDSByteSize: 0 bytes/workgroup (compile time only)
; SGPRBlocks: 0
; VGPRBlocks: 3
; NumSGPRsForWavesPerEU: 36
; NumVGPRsForWavesPerEU: 51
; NamedBarCnt: 0
; Occupancy: 16
; WaveLimiterHint : 1
; COMPUTE_PGM_RSRC2:SCRATCH_EN: 1
; COMPUTE_PGM_RSRC2:USER_SGPR: 2
; COMPUTE_PGM_RSRC2:TRAP_HANDLER: 0
; COMPUTE_PGM_RSRC2:TGID_X_EN: 1
; COMPUTE_PGM_RSRC2:TGID_Y_EN: 0
; COMPUTE_PGM_RSRC2:TGID_Z_EN: 0
; COMPUTE_PGM_RSRC2:TIDIG_COMP_CNT: 0
	.section	.text._Z12wvSplitK_hf_I14__hip_bfloat16Li64ELi7ELi16ELi8ELi1ELi3EEviiPKT_S3_PS1_ii,"axG",@progbits,_Z12wvSplitK_hf_I14__hip_bfloat16Li64ELi7ELi16ELi8ELi1ELi3EEviiPKT_S3_PS1_ii,comdat
	.protected	_Z12wvSplitK_hf_I14__hip_bfloat16Li64ELi7ELi16ELi8ELi1ELi3EEviiPKT_S3_PS1_ii ; -- Begin function _Z12wvSplitK_hf_I14__hip_bfloat16Li64ELi7ELi16ELi8ELi1ELi3EEviiPKT_S3_PS1_ii
	.globl	_Z12wvSplitK_hf_I14__hip_bfloat16Li64ELi7ELi16ELi8ELi1ELi3EEviiPKT_S3_PS1_ii
	.p2align	8
	.type	_Z12wvSplitK_hf_I14__hip_bfloat16Li64ELi7ELi16ELi8ELi1ELi3EEviiPKT_S3_PS1_ii,@function
_Z12wvSplitK_hf_I14__hip_bfloat16Li64ELi7ELi16ELi8ELi1ELi3EEviiPKT_S3_PS1_ii: ; @_Z12wvSplitK_hf_I14__hip_bfloat16Li64ELi7ELi16ELi8ELi1ELi3EEviiPKT_S3_PS1_ii
; %bb.0:
	s_get_pc_i64 s[2:3]
	s_add_nc_u64 s[2:3], s[2:3], __PRETTY_FUNCTION__._Z12wvSplitK_hf_I14__hip_bfloat16Li64ELi7ELi16ELi8ELi1ELi3EEviiPKT_S3_PS1_ii@rel64+4
	s_delay_alu instid0(SALU_CYCLE_1)
	v_dual_mov_b32 v0, 0x351 :: v_dual_mov_b32 v1, s2
	v_mov_b32_e32 v2, s3
	s_add_nc_u64 s[8:9], s[0:1], 40
	s_get_pc_i64 s[0:1]
	s_add_nc_u64 s[0:1], s[0:1], __assert_fail@rel64+4
	s_mov_b32 s32, 0
	s_swap_pc_i64 s[30:31], s[0:1]
	.section	.rodata,"a",@progbits
	.p2align	6, 0x0
	.amdhsa_kernel _Z12wvSplitK_hf_I14__hip_bfloat16Li64ELi7ELi16ELi8ELi1ELi3EEviiPKT_S3_PS1_ii
		.amdhsa_group_segment_fixed_size 0
		.amdhsa_private_segment_fixed_size 64
		.amdhsa_kernarg_size 296
		.amdhsa_user_sgpr_count 2
		.amdhsa_user_sgpr_dispatch_ptr 0
		.amdhsa_user_sgpr_queue_ptr 0
		.amdhsa_user_sgpr_kernarg_segment_ptr 1
		.amdhsa_user_sgpr_dispatch_id 0
		.amdhsa_user_sgpr_kernarg_preload_length 0
		.amdhsa_user_sgpr_kernarg_preload_offset 0
		.amdhsa_user_sgpr_private_segment_size 0
		.amdhsa_wavefront_size32 1
		.amdhsa_uses_dynamic_stack 0
		.amdhsa_enable_private_segment 1
		.amdhsa_system_sgpr_workgroup_id_x 1
		.amdhsa_system_sgpr_workgroup_id_y 0
		.amdhsa_system_sgpr_workgroup_id_z 0
		.amdhsa_system_sgpr_workgroup_info 0
		.amdhsa_system_vgpr_workitem_id 0
		.amdhsa_next_free_vgpr 51
		.amdhsa_next_free_sgpr 34
		.amdhsa_named_barrier_count 0
		.amdhsa_reserve_vcc 1
		.amdhsa_float_round_mode_32 0
		.amdhsa_float_round_mode_16_64 0
		.amdhsa_float_denorm_mode_32 3
		.amdhsa_float_denorm_mode_16_64 3
		.amdhsa_fp16_overflow 0
		.amdhsa_memory_ordered 1
		.amdhsa_forward_progress 1
		.amdhsa_inst_pref_size 1
		.amdhsa_round_robin_scheduling 0
		.amdhsa_exception_fp_ieee_invalid_op 0
		.amdhsa_exception_fp_denorm_src 0
		.amdhsa_exception_fp_ieee_div_zero 0
		.amdhsa_exception_fp_ieee_overflow 0
		.amdhsa_exception_fp_ieee_underflow 0
		.amdhsa_exception_fp_ieee_inexact 0
		.amdhsa_exception_int_div_zero 0
	.end_amdhsa_kernel
	.section	.text._Z12wvSplitK_hf_I14__hip_bfloat16Li64ELi7ELi16ELi8ELi1ELi3EEviiPKT_S3_PS1_ii,"axG",@progbits,_Z12wvSplitK_hf_I14__hip_bfloat16Li64ELi7ELi16ELi8ELi1ELi3EEviiPKT_S3_PS1_ii,comdat
.Lfunc_end29:
	.size	_Z12wvSplitK_hf_I14__hip_bfloat16Li64ELi7ELi16ELi8ELi1ELi3EEviiPKT_S3_PS1_ii, .Lfunc_end29-_Z12wvSplitK_hf_I14__hip_bfloat16Li64ELi7ELi16ELi8ELi1ELi3EEviiPKT_S3_PS1_ii
                                        ; -- End function
	.set _Z12wvSplitK_hf_I14__hip_bfloat16Li64ELi7ELi16ELi8ELi1ELi3EEviiPKT_S3_PS1_ii.num_vgpr, max(3, .L__assert_fail.num_vgpr)
	.set _Z12wvSplitK_hf_I14__hip_bfloat16Li64ELi7ELi16ELi8ELi1ELi3EEviiPKT_S3_PS1_ii.num_agpr, max(0, .L__assert_fail.num_agpr)
	.set _Z12wvSplitK_hf_I14__hip_bfloat16Li64ELi7ELi16ELi8ELi1ELi3EEviiPKT_S3_PS1_ii.numbered_sgpr, max(33, .L__assert_fail.numbered_sgpr)
	.set _Z12wvSplitK_hf_I14__hip_bfloat16Li64ELi7ELi16ELi8ELi1ELi3EEviiPKT_S3_PS1_ii.num_named_barrier, max(0, .L__assert_fail.num_named_barrier)
	.set _Z12wvSplitK_hf_I14__hip_bfloat16Li64ELi7ELi16ELi8ELi1ELi3EEviiPKT_S3_PS1_ii.private_seg_size, 0+max(.L__assert_fail.private_seg_size)
	.set _Z12wvSplitK_hf_I14__hip_bfloat16Li64ELi7ELi16ELi8ELi1ELi3EEviiPKT_S3_PS1_ii.uses_vcc, or(1, .L__assert_fail.uses_vcc)
	.set _Z12wvSplitK_hf_I14__hip_bfloat16Li64ELi7ELi16ELi8ELi1ELi3EEviiPKT_S3_PS1_ii.uses_flat_scratch, or(0, .L__assert_fail.uses_flat_scratch)
	.set _Z12wvSplitK_hf_I14__hip_bfloat16Li64ELi7ELi16ELi8ELi1ELi3EEviiPKT_S3_PS1_ii.has_dyn_sized_stack, or(0, .L__assert_fail.has_dyn_sized_stack)
	.set _Z12wvSplitK_hf_I14__hip_bfloat16Li64ELi7ELi16ELi8ELi1ELi3EEviiPKT_S3_PS1_ii.has_recursion, or(0, .L__assert_fail.has_recursion)
	.set _Z12wvSplitK_hf_I14__hip_bfloat16Li64ELi7ELi16ELi8ELi1ELi3EEviiPKT_S3_PS1_ii.has_indirect_call, or(0, .L__assert_fail.has_indirect_call)
	.section	.AMDGPU.csdata,"",@progbits
; Kernel info:
; codeLenInByte = 64
; TotalNumSgprs: 36
; NumVgprs: 51
; ScratchSize: 64
; MemoryBound: 0
; FloatMode: 240
; IeeeMode: 1
; LDSByteSize: 0 bytes/workgroup (compile time only)
; SGPRBlocks: 0
; VGPRBlocks: 3
; NumSGPRsForWavesPerEU: 36
; NumVGPRsForWavesPerEU: 51
; NamedBarCnt: 0
; Occupancy: 16
; WaveLimiterHint : 1
; COMPUTE_PGM_RSRC2:SCRATCH_EN: 1
; COMPUTE_PGM_RSRC2:USER_SGPR: 2
; COMPUTE_PGM_RSRC2:TRAP_HANDLER: 0
; COMPUTE_PGM_RSRC2:TGID_X_EN: 1
; COMPUTE_PGM_RSRC2:TGID_Y_EN: 0
; COMPUTE_PGM_RSRC2:TGID_Z_EN: 0
; COMPUTE_PGM_RSRC2:TIDIG_COMP_CNT: 0
	.section	.text._Z16wvSplitK_hf_big_I14__hip_bfloat16Li64ELi7ELi16ELi8ELi1ELi3EEviiPKT_S3_PS1_ii,"axG",@progbits,_Z16wvSplitK_hf_big_I14__hip_bfloat16Li64ELi7ELi16ELi8ELi1ELi3EEviiPKT_S3_PS1_ii,comdat
	.protected	_Z16wvSplitK_hf_big_I14__hip_bfloat16Li64ELi7ELi16ELi8ELi1ELi3EEviiPKT_S3_PS1_ii ; -- Begin function _Z16wvSplitK_hf_big_I14__hip_bfloat16Li64ELi7ELi16ELi8ELi1ELi3EEviiPKT_S3_PS1_ii
	.globl	_Z16wvSplitK_hf_big_I14__hip_bfloat16Li64ELi7ELi16ELi8ELi1ELi3EEviiPKT_S3_PS1_ii
	.p2align	8
	.type	_Z16wvSplitK_hf_big_I14__hip_bfloat16Li64ELi7ELi16ELi8ELi1ELi3EEviiPKT_S3_PS1_ii,@function
_Z16wvSplitK_hf_big_I14__hip_bfloat16Li64ELi7ELi16ELi8ELi1ELi3EEviiPKT_S3_PS1_ii: ; @_Z16wvSplitK_hf_big_I14__hip_bfloat16Li64ELi7ELi16ELi8ELi1ELi3EEviiPKT_S3_PS1_ii
; %bb.0:
	s_get_pc_i64 s[2:3]
	s_add_nc_u64 s[2:3], s[2:3], __PRETTY_FUNCTION__._Z16wvSplitK_hf_big_I14__hip_bfloat16Li64ELi7ELi16ELi8ELi1ELi3EEviiPKT_S3_PS1_ii@rel64+4
	s_delay_alu instid0(SALU_CYCLE_1)
	v_dual_mov_b32 v0, 0x4ad :: v_dual_mov_b32 v1, s2
	v_mov_b32_e32 v2, s3
	s_add_nc_u64 s[8:9], s[0:1], 40
	s_get_pc_i64 s[0:1]
	s_add_nc_u64 s[0:1], s[0:1], __assert_fail@rel64+4
	s_mov_b32 s32, 0
	s_swap_pc_i64 s[30:31], s[0:1]
	.section	.rodata,"a",@progbits
	.p2align	6, 0x0
	.amdhsa_kernel _Z16wvSplitK_hf_big_I14__hip_bfloat16Li64ELi7ELi16ELi8ELi1ELi3EEviiPKT_S3_PS1_ii
		.amdhsa_group_segment_fixed_size 0
		.amdhsa_private_segment_fixed_size 64
		.amdhsa_kernarg_size 296
		.amdhsa_user_sgpr_count 2
		.amdhsa_user_sgpr_dispatch_ptr 0
		.amdhsa_user_sgpr_queue_ptr 0
		.amdhsa_user_sgpr_kernarg_segment_ptr 1
		.amdhsa_user_sgpr_dispatch_id 0
		.amdhsa_user_sgpr_kernarg_preload_length 0
		.amdhsa_user_sgpr_kernarg_preload_offset 0
		.amdhsa_user_sgpr_private_segment_size 0
		.amdhsa_wavefront_size32 1
		.amdhsa_uses_dynamic_stack 0
		.amdhsa_enable_private_segment 1
		.amdhsa_system_sgpr_workgroup_id_x 1
		.amdhsa_system_sgpr_workgroup_id_y 0
		.amdhsa_system_sgpr_workgroup_id_z 0
		.amdhsa_system_sgpr_workgroup_info 0
		.amdhsa_system_vgpr_workitem_id 0
		.amdhsa_next_free_vgpr 51
		.amdhsa_next_free_sgpr 34
		.amdhsa_named_barrier_count 0
		.amdhsa_reserve_vcc 1
		.amdhsa_float_round_mode_32 0
		.amdhsa_float_round_mode_16_64 0
		.amdhsa_float_denorm_mode_32 3
		.amdhsa_float_denorm_mode_16_64 3
		.amdhsa_fp16_overflow 0
		.amdhsa_memory_ordered 1
		.amdhsa_forward_progress 1
		.amdhsa_inst_pref_size 1
		.amdhsa_round_robin_scheduling 0
		.amdhsa_exception_fp_ieee_invalid_op 0
		.amdhsa_exception_fp_denorm_src 0
		.amdhsa_exception_fp_ieee_div_zero 0
		.amdhsa_exception_fp_ieee_overflow 0
		.amdhsa_exception_fp_ieee_underflow 0
		.amdhsa_exception_fp_ieee_inexact 0
		.amdhsa_exception_int_div_zero 0
	.end_amdhsa_kernel
	.section	.text._Z16wvSplitK_hf_big_I14__hip_bfloat16Li64ELi7ELi16ELi8ELi1ELi3EEviiPKT_S3_PS1_ii,"axG",@progbits,_Z16wvSplitK_hf_big_I14__hip_bfloat16Li64ELi7ELi16ELi8ELi1ELi3EEviiPKT_S3_PS1_ii,comdat
.Lfunc_end30:
	.size	_Z16wvSplitK_hf_big_I14__hip_bfloat16Li64ELi7ELi16ELi8ELi1ELi3EEviiPKT_S3_PS1_ii, .Lfunc_end30-_Z16wvSplitK_hf_big_I14__hip_bfloat16Li64ELi7ELi16ELi8ELi1ELi3EEviiPKT_S3_PS1_ii
                                        ; -- End function
	.set _Z16wvSplitK_hf_big_I14__hip_bfloat16Li64ELi7ELi16ELi8ELi1ELi3EEviiPKT_S3_PS1_ii.num_vgpr, max(3, .L__assert_fail.num_vgpr)
	.set _Z16wvSplitK_hf_big_I14__hip_bfloat16Li64ELi7ELi16ELi8ELi1ELi3EEviiPKT_S3_PS1_ii.num_agpr, max(0, .L__assert_fail.num_agpr)
	.set _Z16wvSplitK_hf_big_I14__hip_bfloat16Li64ELi7ELi16ELi8ELi1ELi3EEviiPKT_S3_PS1_ii.numbered_sgpr, max(33, .L__assert_fail.numbered_sgpr)
	.set _Z16wvSplitK_hf_big_I14__hip_bfloat16Li64ELi7ELi16ELi8ELi1ELi3EEviiPKT_S3_PS1_ii.num_named_barrier, max(0, .L__assert_fail.num_named_barrier)
	.set _Z16wvSplitK_hf_big_I14__hip_bfloat16Li64ELi7ELi16ELi8ELi1ELi3EEviiPKT_S3_PS1_ii.private_seg_size, 0+max(.L__assert_fail.private_seg_size)
	.set _Z16wvSplitK_hf_big_I14__hip_bfloat16Li64ELi7ELi16ELi8ELi1ELi3EEviiPKT_S3_PS1_ii.uses_vcc, or(1, .L__assert_fail.uses_vcc)
	.set _Z16wvSplitK_hf_big_I14__hip_bfloat16Li64ELi7ELi16ELi8ELi1ELi3EEviiPKT_S3_PS1_ii.uses_flat_scratch, or(0, .L__assert_fail.uses_flat_scratch)
	.set _Z16wvSplitK_hf_big_I14__hip_bfloat16Li64ELi7ELi16ELi8ELi1ELi3EEviiPKT_S3_PS1_ii.has_dyn_sized_stack, or(0, .L__assert_fail.has_dyn_sized_stack)
	.set _Z16wvSplitK_hf_big_I14__hip_bfloat16Li64ELi7ELi16ELi8ELi1ELi3EEviiPKT_S3_PS1_ii.has_recursion, or(0, .L__assert_fail.has_recursion)
	.set _Z16wvSplitK_hf_big_I14__hip_bfloat16Li64ELi7ELi16ELi8ELi1ELi3EEviiPKT_S3_PS1_ii.has_indirect_call, or(0, .L__assert_fail.has_indirect_call)
	.section	.AMDGPU.csdata,"",@progbits
; Kernel info:
; codeLenInByte = 64
; TotalNumSgprs: 36
; NumVgprs: 51
; ScratchSize: 64
; MemoryBound: 0
; FloatMode: 240
; IeeeMode: 1
; LDSByteSize: 0 bytes/workgroup (compile time only)
; SGPRBlocks: 0
; VGPRBlocks: 3
; NumSGPRsForWavesPerEU: 36
; NumVGPRsForWavesPerEU: 51
; NamedBarCnt: 0
; Occupancy: 16
; WaveLimiterHint : 1
; COMPUTE_PGM_RSRC2:SCRATCH_EN: 1
; COMPUTE_PGM_RSRC2:USER_SGPR: 2
; COMPUTE_PGM_RSRC2:TRAP_HANDLER: 0
; COMPUTE_PGM_RSRC2:TGID_X_EN: 1
; COMPUTE_PGM_RSRC2:TGID_Y_EN: 0
; COMPUTE_PGM_RSRC2:TGID_Z_EN: 0
; COMPUTE_PGM_RSRC2:TIDIG_COMP_CNT: 0
	.section	.text._Z16wvSplitK_hf_sml_I14__hip_bfloat16Li64ELi4ELi16ELi8ELi1ELi4EEviiPKT_S3_PS1_ii,"axG",@progbits,_Z16wvSplitK_hf_sml_I14__hip_bfloat16Li64ELi4ELi16ELi8ELi1ELi4EEviiPKT_S3_PS1_ii,comdat
	.protected	_Z16wvSplitK_hf_sml_I14__hip_bfloat16Li64ELi4ELi16ELi8ELi1ELi4EEviiPKT_S3_PS1_ii ; -- Begin function _Z16wvSplitK_hf_sml_I14__hip_bfloat16Li64ELi4ELi16ELi8ELi1ELi4EEviiPKT_S3_PS1_ii
	.globl	_Z16wvSplitK_hf_sml_I14__hip_bfloat16Li64ELi4ELi16ELi8ELi1ELi4EEviiPKT_S3_PS1_ii
	.p2align	8
	.type	_Z16wvSplitK_hf_sml_I14__hip_bfloat16Li64ELi4ELi16ELi8ELi1ELi4EEviiPKT_S3_PS1_ii,@function
_Z16wvSplitK_hf_sml_I14__hip_bfloat16Li64ELi4ELi16ELi8ELi1ELi4EEviiPKT_S3_PS1_ii: ; @_Z16wvSplitK_hf_sml_I14__hip_bfloat16Li64ELi4ELi16ELi8ELi1ELi4EEviiPKT_S3_PS1_ii
; %bb.0:
	s_get_pc_i64 s[2:3]
	s_add_nc_u64 s[2:3], s[2:3], __PRETTY_FUNCTION__._Z16wvSplitK_hf_sml_I14__hip_bfloat16Li64ELi4ELi16ELi8ELi1ELi4EEviiPKT_S3_PS1_ii@rel64+4
	s_delay_alu instid0(SALU_CYCLE_1)
	v_dual_mov_b32 v0, 0x224 :: v_dual_mov_b32 v1, s2
	v_mov_b32_e32 v2, s3
	s_add_nc_u64 s[8:9], s[0:1], 40
	s_get_pc_i64 s[0:1]
	s_add_nc_u64 s[0:1], s[0:1], __assert_fail@rel64+4
	s_mov_b32 s32, 0
	s_swap_pc_i64 s[30:31], s[0:1]
	.section	.rodata,"a",@progbits
	.p2align	6, 0x0
	.amdhsa_kernel _Z16wvSplitK_hf_sml_I14__hip_bfloat16Li64ELi4ELi16ELi8ELi1ELi4EEviiPKT_S3_PS1_ii
		.amdhsa_group_segment_fixed_size 0
		.amdhsa_private_segment_fixed_size 64
		.amdhsa_kernarg_size 296
		.amdhsa_user_sgpr_count 2
		.amdhsa_user_sgpr_dispatch_ptr 0
		.amdhsa_user_sgpr_queue_ptr 0
		.amdhsa_user_sgpr_kernarg_segment_ptr 1
		.amdhsa_user_sgpr_dispatch_id 0
		.amdhsa_user_sgpr_kernarg_preload_length 0
		.amdhsa_user_sgpr_kernarg_preload_offset 0
		.amdhsa_user_sgpr_private_segment_size 0
		.amdhsa_wavefront_size32 1
		.amdhsa_uses_dynamic_stack 0
		.amdhsa_enable_private_segment 1
		.amdhsa_system_sgpr_workgroup_id_x 1
		.amdhsa_system_sgpr_workgroup_id_y 0
		.amdhsa_system_sgpr_workgroup_id_z 0
		.amdhsa_system_sgpr_workgroup_info 0
		.amdhsa_system_vgpr_workitem_id 0
		.amdhsa_next_free_vgpr 51
		.amdhsa_next_free_sgpr 34
		.amdhsa_named_barrier_count 0
		.amdhsa_reserve_vcc 1
		.amdhsa_float_round_mode_32 0
		.amdhsa_float_round_mode_16_64 0
		.amdhsa_float_denorm_mode_32 3
		.amdhsa_float_denorm_mode_16_64 3
		.amdhsa_fp16_overflow 0
		.amdhsa_memory_ordered 1
		.amdhsa_forward_progress 1
		.amdhsa_inst_pref_size 1
		.amdhsa_round_robin_scheduling 0
		.amdhsa_exception_fp_ieee_invalid_op 0
		.amdhsa_exception_fp_denorm_src 0
		.amdhsa_exception_fp_ieee_div_zero 0
		.amdhsa_exception_fp_ieee_overflow 0
		.amdhsa_exception_fp_ieee_underflow 0
		.amdhsa_exception_fp_ieee_inexact 0
		.amdhsa_exception_int_div_zero 0
	.end_amdhsa_kernel
	.section	.text._Z16wvSplitK_hf_sml_I14__hip_bfloat16Li64ELi4ELi16ELi8ELi1ELi4EEviiPKT_S3_PS1_ii,"axG",@progbits,_Z16wvSplitK_hf_sml_I14__hip_bfloat16Li64ELi4ELi16ELi8ELi1ELi4EEviiPKT_S3_PS1_ii,comdat
.Lfunc_end31:
	.size	_Z16wvSplitK_hf_sml_I14__hip_bfloat16Li64ELi4ELi16ELi8ELi1ELi4EEviiPKT_S3_PS1_ii, .Lfunc_end31-_Z16wvSplitK_hf_sml_I14__hip_bfloat16Li64ELi4ELi16ELi8ELi1ELi4EEviiPKT_S3_PS1_ii
                                        ; -- End function
	.set _Z16wvSplitK_hf_sml_I14__hip_bfloat16Li64ELi4ELi16ELi8ELi1ELi4EEviiPKT_S3_PS1_ii.num_vgpr, max(3, .L__assert_fail.num_vgpr)
	.set _Z16wvSplitK_hf_sml_I14__hip_bfloat16Li64ELi4ELi16ELi8ELi1ELi4EEviiPKT_S3_PS1_ii.num_agpr, max(0, .L__assert_fail.num_agpr)
	.set _Z16wvSplitK_hf_sml_I14__hip_bfloat16Li64ELi4ELi16ELi8ELi1ELi4EEviiPKT_S3_PS1_ii.numbered_sgpr, max(33, .L__assert_fail.numbered_sgpr)
	.set _Z16wvSplitK_hf_sml_I14__hip_bfloat16Li64ELi4ELi16ELi8ELi1ELi4EEviiPKT_S3_PS1_ii.num_named_barrier, max(0, .L__assert_fail.num_named_barrier)
	.set _Z16wvSplitK_hf_sml_I14__hip_bfloat16Li64ELi4ELi16ELi8ELi1ELi4EEviiPKT_S3_PS1_ii.private_seg_size, 0+max(.L__assert_fail.private_seg_size)
	.set _Z16wvSplitK_hf_sml_I14__hip_bfloat16Li64ELi4ELi16ELi8ELi1ELi4EEviiPKT_S3_PS1_ii.uses_vcc, or(1, .L__assert_fail.uses_vcc)
	.set _Z16wvSplitK_hf_sml_I14__hip_bfloat16Li64ELi4ELi16ELi8ELi1ELi4EEviiPKT_S3_PS1_ii.uses_flat_scratch, or(0, .L__assert_fail.uses_flat_scratch)
	.set _Z16wvSplitK_hf_sml_I14__hip_bfloat16Li64ELi4ELi16ELi8ELi1ELi4EEviiPKT_S3_PS1_ii.has_dyn_sized_stack, or(0, .L__assert_fail.has_dyn_sized_stack)
	.set _Z16wvSplitK_hf_sml_I14__hip_bfloat16Li64ELi4ELi16ELi8ELi1ELi4EEviiPKT_S3_PS1_ii.has_recursion, or(0, .L__assert_fail.has_recursion)
	.set _Z16wvSplitK_hf_sml_I14__hip_bfloat16Li64ELi4ELi16ELi8ELi1ELi4EEviiPKT_S3_PS1_ii.has_indirect_call, or(0, .L__assert_fail.has_indirect_call)
	.section	.AMDGPU.csdata,"",@progbits
; Kernel info:
; codeLenInByte = 64
; TotalNumSgprs: 36
; NumVgprs: 51
; ScratchSize: 64
; MemoryBound: 0
; FloatMode: 240
; IeeeMode: 1
; LDSByteSize: 0 bytes/workgroup (compile time only)
; SGPRBlocks: 0
; VGPRBlocks: 3
; NumSGPRsForWavesPerEU: 36
; NumVGPRsForWavesPerEU: 51
; NamedBarCnt: 0
; Occupancy: 16
; WaveLimiterHint : 1
; COMPUTE_PGM_RSRC2:SCRATCH_EN: 1
; COMPUTE_PGM_RSRC2:USER_SGPR: 2
; COMPUTE_PGM_RSRC2:TRAP_HANDLER: 0
; COMPUTE_PGM_RSRC2:TGID_X_EN: 1
; COMPUTE_PGM_RSRC2:TGID_Y_EN: 0
; COMPUTE_PGM_RSRC2:TGID_Z_EN: 0
; COMPUTE_PGM_RSRC2:TIDIG_COMP_CNT: 0
	.section	.text._Z12wvSplitK_hf_I14__hip_bfloat16Li64ELi7ELi16ELi8ELi1ELi4EEviiPKT_S3_PS1_ii,"axG",@progbits,_Z12wvSplitK_hf_I14__hip_bfloat16Li64ELi7ELi16ELi8ELi1ELi4EEviiPKT_S3_PS1_ii,comdat
	.protected	_Z12wvSplitK_hf_I14__hip_bfloat16Li64ELi7ELi16ELi8ELi1ELi4EEviiPKT_S3_PS1_ii ; -- Begin function _Z12wvSplitK_hf_I14__hip_bfloat16Li64ELi7ELi16ELi8ELi1ELi4EEviiPKT_S3_PS1_ii
	.globl	_Z12wvSplitK_hf_I14__hip_bfloat16Li64ELi7ELi16ELi8ELi1ELi4EEviiPKT_S3_PS1_ii
	.p2align	8
	.type	_Z12wvSplitK_hf_I14__hip_bfloat16Li64ELi7ELi16ELi8ELi1ELi4EEviiPKT_S3_PS1_ii,@function
_Z12wvSplitK_hf_I14__hip_bfloat16Li64ELi7ELi16ELi8ELi1ELi4EEviiPKT_S3_PS1_ii: ; @_Z12wvSplitK_hf_I14__hip_bfloat16Li64ELi7ELi16ELi8ELi1ELi4EEviiPKT_S3_PS1_ii
; %bb.0:
	s_get_pc_i64 s[2:3]
	s_add_nc_u64 s[2:3], s[2:3], __PRETTY_FUNCTION__._Z12wvSplitK_hf_I14__hip_bfloat16Li64ELi7ELi16ELi8ELi1ELi4EEviiPKT_S3_PS1_ii@rel64+4
	s_delay_alu instid0(SALU_CYCLE_1)
	v_dual_mov_b32 v0, 0x351 :: v_dual_mov_b32 v1, s2
	v_mov_b32_e32 v2, s3
	s_add_nc_u64 s[8:9], s[0:1], 40
	s_get_pc_i64 s[0:1]
	s_add_nc_u64 s[0:1], s[0:1], __assert_fail@rel64+4
	s_mov_b32 s32, 0
	s_swap_pc_i64 s[30:31], s[0:1]
	.section	.rodata,"a",@progbits
	.p2align	6, 0x0
	.amdhsa_kernel _Z12wvSplitK_hf_I14__hip_bfloat16Li64ELi7ELi16ELi8ELi1ELi4EEviiPKT_S3_PS1_ii
		.amdhsa_group_segment_fixed_size 0
		.amdhsa_private_segment_fixed_size 64
		.amdhsa_kernarg_size 296
		.amdhsa_user_sgpr_count 2
		.amdhsa_user_sgpr_dispatch_ptr 0
		.amdhsa_user_sgpr_queue_ptr 0
		.amdhsa_user_sgpr_kernarg_segment_ptr 1
		.amdhsa_user_sgpr_dispatch_id 0
		.amdhsa_user_sgpr_kernarg_preload_length 0
		.amdhsa_user_sgpr_kernarg_preload_offset 0
		.amdhsa_user_sgpr_private_segment_size 0
		.amdhsa_wavefront_size32 1
		.amdhsa_uses_dynamic_stack 0
		.amdhsa_enable_private_segment 1
		.amdhsa_system_sgpr_workgroup_id_x 1
		.amdhsa_system_sgpr_workgroup_id_y 0
		.amdhsa_system_sgpr_workgroup_id_z 0
		.amdhsa_system_sgpr_workgroup_info 0
		.amdhsa_system_vgpr_workitem_id 0
		.amdhsa_next_free_vgpr 51
		.amdhsa_next_free_sgpr 34
		.amdhsa_named_barrier_count 0
		.amdhsa_reserve_vcc 1
		.amdhsa_float_round_mode_32 0
		.amdhsa_float_round_mode_16_64 0
		.amdhsa_float_denorm_mode_32 3
		.amdhsa_float_denorm_mode_16_64 3
		.amdhsa_fp16_overflow 0
		.amdhsa_memory_ordered 1
		.amdhsa_forward_progress 1
		.amdhsa_inst_pref_size 1
		.amdhsa_round_robin_scheduling 0
		.amdhsa_exception_fp_ieee_invalid_op 0
		.amdhsa_exception_fp_denorm_src 0
		.amdhsa_exception_fp_ieee_div_zero 0
		.amdhsa_exception_fp_ieee_overflow 0
		.amdhsa_exception_fp_ieee_underflow 0
		.amdhsa_exception_fp_ieee_inexact 0
		.amdhsa_exception_int_div_zero 0
	.end_amdhsa_kernel
	.section	.text._Z12wvSplitK_hf_I14__hip_bfloat16Li64ELi7ELi16ELi8ELi1ELi4EEviiPKT_S3_PS1_ii,"axG",@progbits,_Z12wvSplitK_hf_I14__hip_bfloat16Li64ELi7ELi16ELi8ELi1ELi4EEviiPKT_S3_PS1_ii,comdat
.Lfunc_end32:
	.size	_Z12wvSplitK_hf_I14__hip_bfloat16Li64ELi7ELi16ELi8ELi1ELi4EEviiPKT_S3_PS1_ii, .Lfunc_end32-_Z12wvSplitK_hf_I14__hip_bfloat16Li64ELi7ELi16ELi8ELi1ELi4EEviiPKT_S3_PS1_ii
                                        ; -- End function
	.set _Z12wvSplitK_hf_I14__hip_bfloat16Li64ELi7ELi16ELi8ELi1ELi4EEviiPKT_S3_PS1_ii.num_vgpr, max(3, .L__assert_fail.num_vgpr)
	.set _Z12wvSplitK_hf_I14__hip_bfloat16Li64ELi7ELi16ELi8ELi1ELi4EEviiPKT_S3_PS1_ii.num_agpr, max(0, .L__assert_fail.num_agpr)
	.set _Z12wvSplitK_hf_I14__hip_bfloat16Li64ELi7ELi16ELi8ELi1ELi4EEviiPKT_S3_PS1_ii.numbered_sgpr, max(33, .L__assert_fail.numbered_sgpr)
	.set _Z12wvSplitK_hf_I14__hip_bfloat16Li64ELi7ELi16ELi8ELi1ELi4EEviiPKT_S3_PS1_ii.num_named_barrier, max(0, .L__assert_fail.num_named_barrier)
	.set _Z12wvSplitK_hf_I14__hip_bfloat16Li64ELi7ELi16ELi8ELi1ELi4EEviiPKT_S3_PS1_ii.private_seg_size, 0+max(.L__assert_fail.private_seg_size)
	.set _Z12wvSplitK_hf_I14__hip_bfloat16Li64ELi7ELi16ELi8ELi1ELi4EEviiPKT_S3_PS1_ii.uses_vcc, or(1, .L__assert_fail.uses_vcc)
	.set _Z12wvSplitK_hf_I14__hip_bfloat16Li64ELi7ELi16ELi8ELi1ELi4EEviiPKT_S3_PS1_ii.uses_flat_scratch, or(0, .L__assert_fail.uses_flat_scratch)
	.set _Z12wvSplitK_hf_I14__hip_bfloat16Li64ELi7ELi16ELi8ELi1ELi4EEviiPKT_S3_PS1_ii.has_dyn_sized_stack, or(0, .L__assert_fail.has_dyn_sized_stack)
	.set _Z12wvSplitK_hf_I14__hip_bfloat16Li64ELi7ELi16ELi8ELi1ELi4EEviiPKT_S3_PS1_ii.has_recursion, or(0, .L__assert_fail.has_recursion)
	.set _Z12wvSplitK_hf_I14__hip_bfloat16Li64ELi7ELi16ELi8ELi1ELi4EEviiPKT_S3_PS1_ii.has_indirect_call, or(0, .L__assert_fail.has_indirect_call)
	.section	.AMDGPU.csdata,"",@progbits
; Kernel info:
; codeLenInByte = 64
; TotalNumSgprs: 36
; NumVgprs: 51
; ScratchSize: 64
; MemoryBound: 0
; FloatMode: 240
; IeeeMode: 1
; LDSByteSize: 0 bytes/workgroup (compile time only)
; SGPRBlocks: 0
; VGPRBlocks: 3
; NumSGPRsForWavesPerEU: 36
; NumVGPRsForWavesPerEU: 51
; NamedBarCnt: 0
; Occupancy: 16
; WaveLimiterHint : 1
; COMPUTE_PGM_RSRC2:SCRATCH_EN: 1
; COMPUTE_PGM_RSRC2:USER_SGPR: 2
; COMPUTE_PGM_RSRC2:TRAP_HANDLER: 0
; COMPUTE_PGM_RSRC2:TGID_X_EN: 1
; COMPUTE_PGM_RSRC2:TGID_Y_EN: 0
; COMPUTE_PGM_RSRC2:TGID_Z_EN: 0
; COMPUTE_PGM_RSRC2:TIDIG_COMP_CNT: 0
	.section	.text._Z16wvSplitK_hf_big_I14__hip_bfloat16Li64ELi7ELi16ELi8ELi1ELi4EEviiPKT_S3_PS1_ii,"axG",@progbits,_Z16wvSplitK_hf_big_I14__hip_bfloat16Li64ELi7ELi16ELi8ELi1ELi4EEviiPKT_S3_PS1_ii,comdat
	.protected	_Z16wvSplitK_hf_big_I14__hip_bfloat16Li64ELi7ELi16ELi8ELi1ELi4EEviiPKT_S3_PS1_ii ; -- Begin function _Z16wvSplitK_hf_big_I14__hip_bfloat16Li64ELi7ELi16ELi8ELi1ELi4EEviiPKT_S3_PS1_ii
	.globl	_Z16wvSplitK_hf_big_I14__hip_bfloat16Li64ELi7ELi16ELi8ELi1ELi4EEviiPKT_S3_PS1_ii
	.p2align	8
	.type	_Z16wvSplitK_hf_big_I14__hip_bfloat16Li64ELi7ELi16ELi8ELi1ELi4EEviiPKT_S3_PS1_ii,@function
_Z16wvSplitK_hf_big_I14__hip_bfloat16Li64ELi7ELi16ELi8ELi1ELi4EEviiPKT_S3_PS1_ii: ; @_Z16wvSplitK_hf_big_I14__hip_bfloat16Li64ELi7ELi16ELi8ELi1ELi4EEviiPKT_S3_PS1_ii
; %bb.0:
	s_get_pc_i64 s[2:3]
	s_add_nc_u64 s[2:3], s[2:3], __PRETTY_FUNCTION__._Z16wvSplitK_hf_big_I14__hip_bfloat16Li64ELi7ELi16ELi8ELi1ELi4EEviiPKT_S3_PS1_ii@rel64+4
	s_delay_alu instid0(SALU_CYCLE_1)
	v_dual_mov_b32 v0, 0x4ad :: v_dual_mov_b32 v1, s2
	v_mov_b32_e32 v2, s3
	s_add_nc_u64 s[8:9], s[0:1], 40
	s_get_pc_i64 s[0:1]
	s_add_nc_u64 s[0:1], s[0:1], __assert_fail@rel64+4
	s_mov_b32 s32, 0
	s_swap_pc_i64 s[30:31], s[0:1]
	.section	.rodata,"a",@progbits
	.p2align	6, 0x0
	.amdhsa_kernel _Z16wvSplitK_hf_big_I14__hip_bfloat16Li64ELi7ELi16ELi8ELi1ELi4EEviiPKT_S3_PS1_ii
		.amdhsa_group_segment_fixed_size 0
		.amdhsa_private_segment_fixed_size 64
		.amdhsa_kernarg_size 296
		.amdhsa_user_sgpr_count 2
		.amdhsa_user_sgpr_dispatch_ptr 0
		.amdhsa_user_sgpr_queue_ptr 0
		.amdhsa_user_sgpr_kernarg_segment_ptr 1
		.amdhsa_user_sgpr_dispatch_id 0
		.amdhsa_user_sgpr_kernarg_preload_length 0
		.amdhsa_user_sgpr_kernarg_preload_offset 0
		.amdhsa_user_sgpr_private_segment_size 0
		.amdhsa_wavefront_size32 1
		.amdhsa_uses_dynamic_stack 0
		.amdhsa_enable_private_segment 1
		.amdhsa_system_sgpr_workgroup_id_x 1
		.amdhsa_system_sgpr_workgroup_id_y 0
		.amdhsa_system_sgpr_workgroup_id_z 0
		.amdhsa_system_sgpr_workgroup_info 0
		.amdhsa_system_vgpr_workitem_id 0
		.amdhsa_next_free_vgpr 51
		.amdhsa_next_free_sgpr 34
		.amdhsa_named_barrier_count 0
		.amdhsa_reserve_vcc 1
		.amdhsa_float_round_mode_32 0
		.amdhsa_float_round_mode_16_64 0
		.amdhsa_float_denorm_mode_32 3
		.amdhsa_float_denorm_mode_16_64 3
		.amdhsa_fp16_overflow 0
		.amdhsa_memory_ordered 1
		.amdhsa_forward_progress 1
		.amdhsa_inst_pref_size 1
		.amdhsa_round_robin_scheduling 0
		.amdhsa_exception_fp_ieee_invalid_op 0
		.amdhsa_exception_fp_denorm_src 0
		.amdhsa_exception_fp_ieee_div_zero 0
		.amdhsa_exception_fp_ieee_overflow 0
		.amdhsa_exception_fp_ieee_underflow 0
		.amdhsa_exception_fp_ieee_inexact 0
		.amdhsa_exception_int_div_zero 0
	.end_amdhsa_kernel
	.section	.text._Z16wvSplitK_hf_big_I14__hip_bfloat16Li64ELi7ELi16ELi8ELi1ELi4EEviiPKT_S3_PS1_ii,"axG",@progbits,_Z16wvSplitK_hf_big_I14__hip_bfloat16Li64ELi7ELi16ELi8ELi1ELi4EEviiPKT_S3_PS1_ii,comdat
.Lfunc_end33:
	.size	_Z16wvSplitK_hf_big_I14__hip_bfloat16Li64ELi7ELi16ELi8ELi1ELi4EEviiPKT_S3_PS1_ii, .Lfunc_end33-_Z16wvSplitK_hf_big_I14__hip_bfloat16Li64ELi7ELi16ELi8ELi1ELi4EEviiPKT_S3_PS1_ii
                                        ; -- End function
	.set _Z16wvSplitK_hf_big_I14__hip_bfloat16Li64ELi7ELi16ELi8ELi1ELi4EEviiPKT_S3_PS1_ii.num_vgpr, max(3, .L__assert_fail.num_vgpr)
	.set _Z16wvSplitK_hf_big_I14__hip_bfloat16Li64ELi7ELi16ELi8ELi1ELi4EEviiPKT_S3_PS1_ii.num_agpr, max(0, .L__assert_fail.num_agpr)
	.set _Z16wvSplitK_hf_big_I14__hip_bfloat16Li64ELi7ELi16ELi8ELi1ELi4EEviiPKT_S3_PS1_ii.numbered_sgpr, max(33, .L__assert_fail.numbered_sgpr)
	.set _Z16wvSplitK_hf_big_I14__hip_bfloat16Li64ELi7ELi16ELi8ELi1ELi4EEviiPKT_S3_PS1_ii.num_named_barrier, max(0, .L__assert_fail.num_named_barrier)
	.set _Z16wvSplitK_hf_big_I14__hip_bfloat16Li64ELi7ELi16ELi8ELi1ELi4EEviiPKT_S3_PS1_ii.private_seg_size, 0+max(.L__assert_fail.private_seg_size)
	.set _Z16wvSplitK_hf_big_I14__hip_bfloat16Li64ELi7ELi16ELi8ELi1ELi4EEviiPKT_S3_PS1_ii.uses_vcc, or(1, .L__assert_fail.uses_vcc)
	.set _Z16wvSplitK_hf_big_I14__hip_bfloat16Li64ELi7ELi16ELi8ELi1ELi4EEviiPKT_S3_PS1_ii.uses_flat_scratch, or(0, .L__assert_fail.uses_flat_scratch)
	.set _Z16wvSplitK_hf_big_I14__hip_bfloat16Li64ELi7ELi16ELi8ELi1ELi4EEviiPKT_S3_PS1_ii.has_dyn_sized_stack, or(0, .L__assert_fail.has_dyn_sized_stack)
	.set _Z16wvSplitK_hf_big_I14__hip_bfloat16Li64ELi7ELi16ELi8ELi1ELi4EEviiPKT_S3_PS1_ii.has_recursion, or(0, .L__assert_fail.has_recursion)
	.set _Z16wvSplitK_hf_big_I14__hip_bfloat16Li64ELi7ELi16ELi8ELi1ELi4EEviiPKT_S3_PS1_ii.has_indirect_call, or(0, .L__assert_fail.has_indirect_call)
	.section	.AMDGPU.csdata,"",@progbits
; Kernel info:
; codeLenInByte = 64
; TotalNumSgprs: 36
; NumVgprs: 51
; ScratchSize: 64
; MemoryBound: 0
; FloatMode: 240
; IeeeMode: 1
; LDSByteSize: 0 bytes/workgroup (compile time only)
; SGPRBlocks: 0
; VGPRBlocks: 3
; NumSGPRsForWavesPerEU: 36
; NumVGPRsForWavesPerEU: 51
; NamedBarCnt: 0
; Occupancy: 16
; WaveLimiterHint : 1
; COMPUTE_PGM_RSRC2:SCRATCH_EN: 1
; COMPUTE_PGM_RSRC2:USER_SGPR: 2
; COMPUTE_PGM_RSRC2:TRAP_HANDLER: 0
; COMPUTE_PGM_RSRC2:TGID_X_EN: 1
; COMPUTE_PGM_RSRC2:TGID_Y_EN: 0
; COMPUTE_PGM_RSRC2:TGID_Z_EN: 0
; COMPUTE_PGM_RSRC2:TIDIG_COMP_CNT: 0
	.section	.text._Z17wvSplitKQ_hf_sml_I6__halfN3c1013Float8_e4m3fnELi64ELi2ELi16ELi16ELi2ELi1EEviiiPKT0_S5_PT_PKfS9_ii,"axG",@progbits,_Z17wvSplitKQ_hf_sml_I6__halfN3c1013Float8_e4m3fnELi64ELi2ELi16ELi16ELi2ELi1EEviiiPKT0_S5_PT_PKfS9_ii,comdat
	.protected	_Z17wvSplitKQ_hf_sml_I6__halfN3c1013Float8_e4m3fnELi64ELi2ELi16ELi16ELi2ELi1EEviiiPKT0_S5_PT_PKfS9_ii ; -- Begin function _Z17wvSplitKQ_hf_sml_I6__halfN3c1013Float8_e4m3fnELi64ELi2ELi16ELi16ELi2ELi1EEviiiPKT0_S5_PT_PKfS9_ii
	.globl	_Z17wvSplitKQ_hf_sml_I6__halfN3c1013Float8_e4m3fnELi64ELi2ELi16ELi16ELi2ELi1EEviiiPKT0_S5_PT_PKfS9_ii
	.p2align	8
	.type	_Z17wvSplitKQ_hf_sml_I6__halfN3c1013Float8_e4m3fnELi64ELi2ELi16ELi16ELi2ELi1EEviiiPKT0_S5_PT_PKfS9_ii,@function
_Z17wvSplitKQ_hf_sml_I6__halfN3c1013Float8_e4m3fnELi64ELi2ELi16ELi16ELi2ELi1EEviiiPKT0_S5_PT_PKfS9_ii: ; @_Z17wvSplitKQ_hf_sml_I6__halfN3c1013Float8_e4m3fnELi64ELi2ELi16ELi16ELi2ELi1EEviiiPKT0_S5_PT_PKfS9_ii
; %bb.0:
	s_get_pc_i64 s[2:3]
	s_add_nc_u64 s[2:3], s[2:3], __PRETTY_FUNCTION__._Z17wvSplitKQ_hf_sml_I6__halfN3c1013Float8_e4m3fnELi64ELi2ELi16ELi16ELi2ELi1EEviiiPKT0_S5_PT_PKfS9_ii@rel64+4
	s_delay_alu instid0(SALU_CYCLE_1)
	v_dual_mov_b32 v0, 0x5c1 :: v_dual_mov_b32 v1, s2
	v_mov_b32_e32 v2, s3
	s_add_nc_u64 s[8:9], s[0:1], 64
	s_get_pc_i64 s[0:1]
	s_add_nc_u64 s[0:1], s[0:1], __assert_fail@rel64+4
	s_mov_b32 s32, 0
	s_swap_pc_i64 s[30:31], s[0:1]
	.section	.rodata,"a",@progbits
	.p2align	6, 0x0
	.amdhsa_kernel _Z17wvSplitKQ_hf_sml_I6__halfN3c1013Float8_e4m3fnELi64ELi2ELi16ELi16ELi2ELi1EEviiiPKT0_S5_PT_PKfS9_ii
		.amdhsa_group_segment_fixed_size 0
		.amdhsa_private_segment_fixed_size 64
		.amdhsa_kernarg_size 320
		.amdhsa_user_sgpr_count 2
		.amdhsa_user_sgpr_dispatch_ptr 0
		.amdhsa_user_sgpr_queue_ptr 0
		.amdhsa_user_sgpr_kernarg_segment_ptr 1
		.amdhsa_user_sgpr_dispatch_id 0
		.amdhsa_user_sgpr_kernarg_preload_length 0
		.amdhsa_user_sgpr_kernarg_preload_offset 0
		.amdhsa_user_sgpr_private_segment_size 0
		.amdhsa_wavefront_size32 1
		.amdhsa_uses_dynamic_stack 0
		.amdhsa_enable_private_segment 1
		.amdhsa_system_sgpr_workgroup_id_x 1
		.amdhsa_system_sgpr_workgroup_id_y 0
		.amdhsa_system_sgpr_workgroup_id_z 0
		.amdhsa_system_sgpr_workgroup_info 0
		.amdhsa_system_vgpr_workitem_id 0
		.amdhsa_next_free_vgpr 51
		.amdhsa_next_free_sgpr 34
		.amdhsa_named_barrier_count 0
		.amdhsa_reserve_vcc 1
		.amdhsa_float_round_mode_32 0
		.amdhsa_float_round_mode_16_64 0
		.amdhsa_float_denorm_mode_32 3
		.amdhsa_float_denorm_mode_16_64 3
		.amdhsa_fp16_overflow 0
		.amdhsa_memory_ordered 1
		.amdhsa_forward_progress 1
		.amdhsa_inst_pref_size 1
		.amdhsa_round_robin_scheduling 0
		.amdhsa_exception_fp_ieee_invalid_op 0
		.amdhsa_exception_fp_denorm_src 0
		.amdhsa_exception_fp_ieee_div_zero 0
		.amdhsa_exception_fp_ieee_overflow 0
		.amdhsa_exception_fp_ieee_underflow 0
		.amdhsa_exception_fp_ieee_inexact 0
		.amdhsa_exception_int_div_zero 0
	.end_amdhsa_kernel
	.section	.text._Z17wvSplitKQ_hf_sml_I6__halfN3c1013Float8_e4m3fnELi64ELi2ELi16ELi16ELi2ELi1EEviiiPKT0_S5_PT_PKfS9_ii,"axG",@progbits,_Z17wvSplitKQ_hf_sml_I6__halfN3c1013Float8_e4m3fnELi64ELi2ELi16ELi16ELi2ELi1EEviiiPKT0_S5_PT_PKfS9_ii,comdat
.Lfunc_end34:
	.size	_Z17wvSplitKQ_hf_sml_I6__halfN3c1013Float8_e4m3fnELi64ELi2ELi16ELi16ELi2ELi1EEviiiPKT0_S5_PT_PKfS9_ii, .Lfunc_end34-_Z17wvSplitKQ_hf_sml_I6__halfN3c1013Float8_e4m3fnELi64ELi2ELi16ELi16ELi2ELi1EEviiiPKT0_S5_PT_PKfS9_ii
                                        ; -- End function
	.set _Z17wvSplitKQ_hf_sml_I6__halfN3c1013Float8_e4m3fnELi64ELi2ELi16ELi16ELi2ELi1EEviiiPKT0_S5_PT_PKfS9_ii.num_vgpr, max(3, .L__assert_fail.num_vgpr)
	.set _Z17wvSplitKQ_hf_sml_I6__halfN3c1013Float8_e4m3fnELi64ELi2ELi16ELi16ELi2ELi1EEviiiPKT0_S5_PT_PKfS9_ii.num_agpr, max(0, .L__assert_fail.num_agpr)
	.set _Z17wvSplitKQ_hf_sml_I6__halfN3c1013Float8_e4m3fnELi64ELi2ELi16ELi16ELi2ELi1EEviiiPKT0_S5_PT_PKfS9_ii.numbered_sgpr, max(33, .L__assert_fail.numbered_sgpr)
	.set _Z17wvSplitKQ_hf_sml_I6__halfN3c1013Float8_e4m3fnELi64ELi2ELi16ELi16ELi2ELi1EEviiiPKT0_S5_PT_PKfS9_ii.num_named_barrier, max(0, .L__assert_fail.num_named_barrier)
	.set _Z17wvSplitKQ_hf_sml_I6__halfN3c1013Float8_e4m3fnELi64ELi2ELi16ELi16ELi2ELi1EEviiiPKT0_S5_PT_PKfS9_ii.private_seg_size, 0+max(.L__assert_fail.private_seg_size)
	.set _Z17wvSplitKQ_hf_sml_I6__halfN3c1013Float8_e4m3fnELi64ELi2ELi16ELi16ELi2ELi1EEviiiPKT0_S5_PT_PKfS9_ii.uses_vcc, or(1, .L__assert_fail.uses_vcc)
	.set _Z17wvSplitKQ_hf_sml_I6__halfN3c1013Float8_e4m3fnELi64ELi2ELi16ELi16ELi2ELi1EEviiiPKT0_S5_PT_PKfS9_ii.uses_flat_scratch, or(0, .L__assert_fail.uses_flat_scratch)
	.set _Z17wvSplitKQ_hf_sml_I6__halfN3c1013Float8_e4m3fnELi64ELi2ELi16ELi16ELi2ELi1EEviiiPKT0_S5_PT_PKfS9_ii.has_dyn_sized_stack, or(0, .L__assert_fail.has_dyn_sized_stack)
	.set _Z17wvSplitKQ_hf_sml_I6__halfN3c1013Float8_e4m3fnELi64ELi2ELi16ELi16ELi2ELi1EEviiiPKT0_S5_PT_PKfS9_ii.has_recursion, or(0, .L__assert_fail.has_recursion)
	.set _Z17wvSplitKQ_hf_sml_I6__halfN3c1013Float8_e4m3fnELi64ELi2ELi16ELi16ELi2ELi1EEviiiPKT0_S5_PT_PKfS9_ii.has_indirect_call, or(0, .L__assert_fail.has_indirect_call)
	.section	.AMDGPU.csdata,"",@progbits
; Kernel info:
; codeLenInByte = 64
; TotalNumSgprs: 36
; NumVgprs: 51
; ScratchSize: 64
; MemoryBound: 0
; FloatMode: 240
; IeeeMode: 1
; LDSByteSize: 0 bytes/workgroup (compile time only)
; SGPRBlocks: 0
; VGPRBlocks: 3
; NumSGPRsForWavesPerEU: 36
; NumVGPRsForWavesPerEU: 51
; NamedBarCnt: 0
; Occupancy: 16
; WaveLimiterHint : 1
; COMPUTE_PGM_RSRC2:SCRATCH_EN: 1
; COMPUTE_PGM_RSRC2:USER_SGPR: 2
; COMPUTE_PGM_RSRC2:TRAP_HANDLER: 0
; COMPUTE_PGM_RSRC2:TGID_X_EN: 1
; COMPUTE_PGM_RSRC2:TGID_Y_EN: 0
; COMPUTE_PGM_RSRC2:TGID_Z_EN: 0
; COMPUTE_PGM_RSRC2:TIDIG_COMP_CNT: 0
	.section	.text._Z13wvSplitKQ_hf_I6__halfN3c1013Float8_e4m3fnELi64ELi2ELi16ELi16ELi2ELi1EEviiiPKT0_S5_PT_PKfS9_ii,"axG",@progbits,_Z13wvSplitKQ_hf_I6__halfN3c1013Float8_e4m3fnELi64ELi2ELi16ELi16ELi2ELi1EEviiiPKT0_S5_PT_PKfS9_ii,comdat
	.protected	_Z13wvSplitKQ_hf_I6__halfN3c1013Float8_e4m3fnELi64ELi2ELi16ELi16ELi2ELi1EEviiiPKT0_S5_PT_PKfS9_ii ; -- Begin function _Z13wvSplitKQ_hf_I6__halfN3c1013Float8_e4m3fnELi64ELi2ELi16ELi16ELi2ELi1EEviiiPKT0_S5_PT_PKfS9_ii
	.globl	_Z13wvSplitKQ_hf_I6__halfN3c1013Float8_e4m3fnELi64ELi2ELi16ELi16ELi2ELi1EEviiiPKT0_S5_PT_PKfS9_ii
	.p2align	8
	.type	_Z13wvSplitKQ_hf_I6__halfN3c1013Float8_e4m3fnELi64ELi2ELi16ELi16ELi2ELi1EEviiiPKT0_S5_PT_PKfS9_ii,@function
_Z13wvSplitKQ_hf_I6__halfN3c1013Float8_e4m3fnELi64ELi2ELi16ELi16ELi2ELi1EEviiiPKT0_S5_PT_PKfS9_ii: ; @_Z13wvSplitKQ_hf_I6__halfN3c1013Float8_e4m3fnELi64ELi2ELi16ELi16ELi2ELi1EEviiiPKT0_S5_PT_PKfS9_ii
; %bb.0:
	s_get_pc_i64 s[2:3]
	s_add_nc_u64 s[2:3], s[2:3], __PRETTY_FUNCTION__._Z13wvSplitKQ_hf_I6__halfN3c1013Float8_e4m3fnELi64ELi2ELi16ELi16ELi2ELi1EEviiiPKT0_S5_PT_PKfS9_ii@rel64+4
	s_delay_alu instid0(SALU_CYCLE_1)
	v_dual_mov_b32 v0, 0x66e :: v_dual_mov_b32 v1, s2
	v_mov_b32_e32 v2, s3
	s_add_nc_u64 s[8:9], s[0:1], 64
	s_get_pc_i64 s[0:1]
	s_add_nc_u64 s[0:1], s[0:1], __assert_fail@rel64+4
	s_mov_b32 s32, 0
	s_swap_pc_i64 s[30:31], s[0:1]
	.section	.rodata,"a",@progbits
	.p2align	6, 0x0
	.amdhsa_kernel _Z13wvSplitKQ_hf_I6__halfN3c1013Float8_e4m3fnELi64ELi2ELi16ELi16ELi2ELi1EEviiiPKT0_S5_PT_PKfS9_ii
		.amdhsa_group_segment_fixed_size 0
		.amdhsa_private_segment_fixed_size 64
		.amdhsa_kernarg_size 320
		.amdhsa_user_sgpr_count 2
		.amdhsa_user_sgpr_dispatch_ptr 0
		.amdhsa_user_sgpr_queue_ptr 0
		.amdhsa_user_sgpr_kernarg_segment_ptr 1
		.amdhsa_user_sgpr_dispatch_id 0
		.amdhsa_user_sgpr_kernarg_preload_length 0
		.amdhsa_user_sgpr_kernarg_preload_offset 0
		.amdhsa_user_sgpr_private_segment_size 0
		.amdhsa_wavefront_size32 1
		.amdhsa_uses_dynamic_stack 0
		.amdhsa_enable_private_segment 1
		.amdhsa_system_sgpr_workgroup_id_x 1
		.amdhsa_system_sgpr_workgroup_id_y 0
		.amdhsa_system_sgpr_workgroup_id_z 0
		.amdhsa_system_sgpr_workgroup_info 0
		.amdhsa_system_vgpr_workitem_id 0
		.amdhsa_next_free_vgpr 51
		.amdhsa_next_free_sgpr 34
		.amdhsa_named_barrier_count 0
		.amdhsa_reserve_vcc 1
		.amdhsa_float_round_mode_32 0
		.amdhsa_float_round_mode_16_64 0
		.amdhsa_float_denorm_mode_32 3
		.amdhsa_float_denorm_mode_16_64 3
		.amdhsa_fp16_overflow 0
		.amdhsa_memory_ordered 1
		.amdhsa_forward_progress 1
		.amdhsa_inst_pref_size 1
		.amdhsa_round_robin_scheduling 0
		.amdhsa_exception_fp_ieee_invalid_op 0
		.amdhsa_exception_fp_denorm_src 0
		.amdhsa_exception_fp_ieee_div_zero 0
		.amdhsa_exception_fp_ieee_overflow 0
		.amdhsa_exception_fp_ieee_underflow 0
		.amdhsa_exception_fp_ieee_inexact 0
		.amdhsa_exception_int_div_zero 0
	.end_amdhsa_kernel
	.section	.text._Z13wvSplitKQ_hf_I6__halfN3c1013Float8_e4m3fnELi64ELi2ELi16ELi16ELi2ELi1EEviiiPKT0_S5_PT_PKfS9_ii,"axG",@progbits,_Z13wvSplitKQ_hf_I6__halfN3c1013Float8_e4m3fnELi64ELi2ELi16ELi16ELi2ELi1EEviiiPKT0_S5_PT_PKfS9_ii,comdat
.Lfunc_end35:
	.size	_Z13wvSplitKQ_hf_I6__halfN3c1013Float8_e4m3fnELi64ELi2ELi16ELi16ELi2ELi1EEviiiPKT0_S5_PT_PKfS9_ii, .Lfunc_end35-_Z13wvSplitKQ_hf_I6__halfN3c1013Float8_e4m3fnELi64ELi2ELi16ELi16ELi2ELi1EEviiiPKT0_S5_PT_PKfS9_ii
                                        ; -- End function
	.set _Z13wvSplitKQ_hf_I6__halfN3c1013Float8_e4m3fnELi64ELi2ELi16ELi16ELi2ELi1EEviiiPKT0_S5_PT_PKfS9_ii.num_vgpr, max(3, .L__assert_fail.num_vgpr)
	.set _Z13wvSplitKQ_hf_I6__halfN3c1013Float8_e4m3fnELi64ELi2ELi16ELi16ELi2ELi1EEviiiPKT0_S5_PT_PKfS9_ii.num_agpr, max(0, .L__assert_fail.num_agpr)
	.set _Z13wvSplitKQ_hf_I6__halfN3c1013Float8_e4m3fnELi64ELi2ELi16ELi16ELi2ELi1EEviiiPKT0_S5_PT_PKfS9_ii.numbered_sgpr, max(33, .L__assert_fail.numbered_sgpr)
	.set _Z13wvSplitKQ_hf_I6__halfN3c1013Float8_e4m3fnELi64ELi2ELi16ELi16ELi2ELi1EEviiiPKT0_S5_PT_PKfS9_ii.num_named_barrier, max(0, .L__assert_fail.num_named_barrier)
	.set _Z13wvSplitKQ_hf_I6__halfN3c1013Float8_e4m3fnELi64ELi2ELi16ELi16ELi2ELi1EEviiiPKT0_S5_PT_PKfS9_ii.private_seg_size, 0+max(.L__assert_fail.private_seg_size)
	.set _Z13wvSplitKQ_hf_I6__halfN3c1013Float8_e4m3fnELi64ELi2ELi16ELi16ELi2ELi1EEviiiPKT0_S5_PT_PKfS9_ii.uses_vcc, or(1, .L__assert_fail.uses_vcc)
	.set _Z13wvSplitKQ_hf_I6__halfN3c1013Float8_e4m3fnELi64ELi2ELi16ELi16ELi2ELi1EEviiiPKT0_S5_PT_PKfS9_ii.uses_flat_scratch, or(0, .L__assert_fail.uses_flat_scratch)
	.set _Z13wvSplitKQ_hf_I6__halfN3c1013Float8_e4m3fnELi64ELi2ELi16ELi16ELi2ELi1EEviiiPKT0_S5_PT_PKfS9_ii.has_dyn_sized_stack, or(0, .L__assert_fail.has_dyn_sized_stack)
	.set _Z13wvSplitKQ_hf_I6__halfN3c1013Float8_e4m3fnELi64ELi2ELi16ELi16ELi2ELi1EEviiiPKT0_S5_PT_PKfS9_ii.has_recursion, or(0, .L__assert_fail.has_recursion)
	.set _Z13wvSplitKQ_hf_I6__halfN3c1013Float8_e4m3fnELi64ELi2ELi16ELi16ELi2ELi1EEviiiPKT0_S5_PT_PKfS9_ii.has_indirect_call, or(0, .L__assert_fail.has_indirect_call)
	.section	.AMDGPU.csdata,"",@progbits
; Kernel info:
; codeLenInByte = 64
; TotalNumSgprs: 36
; NumVgprs: 51
; ScratchSize: 64
; MemoryBound: 0
; FloatMode: 240
; IeeeMode: 1
; LDSByteSize: 0 bytes/workgroup (compile time only)
; SGPRBlocks: 0
; VGPRBlocks: 3
; NumSGPRsForWavesPerEU: 36
; NumVGPRsForWavesPerEU: 51
; NamedBarCnt: 0
; Occupancy: 16
; WaveLimiterHint : 1
; COMPUTE_PGM_RSRC2:SCRATCH_EN: 1
; COMPUTE_PGM_RSRC2:USER_SGPR: 2
; COMPUTE_PGM_RSRC2:TRAP_HANDLER: 0
; COMPUTE_PGM_RSRC2:TGID_X_EN: 1
; COMPUTE_PGM_RSRC2:TGID_Y_EN: 0
; COMPUTE_PGM_RSRC2:TGID_Z_EN: 0
; COMPUTE_PGM_RSRC2:TIDIG_COMP_CNT: 0
	.section	.text._Z17wvSplitKQ_hf_sml_I6__halfN3c1013Float8_e4m3fnELi64ELi2ELi16ELi16ELi2ELi2EEviiiPKT0_S5_PT_PKfS9_ii,"axG",@progbits,_Z17wvSplitKQ_hf_sml_I6__halfN3c1013Float8_e4m3fnELi64ELi2ELi16ELi16ELi2ELi2EEviiiPKT0_S5_PT_PKfS9_ii,comdat
	.protected	_Z17wvSplitKQ_hf_sml_I6__halfN3c1013Float8_e4m3fnELi64ELi2ELi16ELi16ELi2ELi2EEviiiPKT0_S5_PT_PKfS9_ii ; -- Begin function _Z17wvSplitKQ_hf_sml_I6__halfN3c1013Float8_e4m3fnELi64ELi2ELi16ELi16ELi2ELi2EEviiiPKT0_S5_PT_PKfS9_ii
	.globl	_Z17wvSplitKQ_hf_sml_I6__halfN3c1013Float8_e4m3fnELi64ELi2ELi16ELi16ELi2ELi2EEviiiPKT0_S5_PT_PKfS9_ii
	.p2align	8
	.type	_Z17wvSplitKQ_hf_sml_I6__halfN3c1013Float8_e4m3fnELi64ELi2ELi16ELi16ELi2ELi2EEviiiPKT0_S5_PT_PKfS9_ii,@function
_Z17wvSplitKQ_hf_sml_I6__halfN3c1013Float8_e4m3fnELi64ELi2ELi16ELi16ELi2ELi2EEviiiPKT0_S5_PT_PKfS9_ii: ; @_Z17wvSplitKQ_hf_sml_I6__halfN3c1013Float8_e4m3fnELi64ELi2ELi16ELi16ELi2ELi2EEviiiPKT0_S5_PT_PKfS9_ii
; %bb.0:
	s_get_pc_i64 s[2:3]
	s_add_nc_u64 s[2:3], s[2:3], __PRETTY_FUNCTION__._Z17wvSplitKQ_hf_sml_I6__halfN3c1013Float8_e4m3fnELi64ELi2ELi16ELi16ELi2ELi2EEviiiPKT0_S5_PT_PKfS9_ii@rel64+4
	s_delay_alu instid0(SALU_CYCLE_1)
	v_dual_mov_b32 v0, 0x5c1 :: v_dual_mov_b32 v1, s2
	v_mov_b32_e32 v2, s3
	s_add_nc_u64 s[8:9], s[0:1], 64
	s_get_pc_i64 s[0:1]
	s_add_nc_u64 s[0:1], s[0:1], __assert_fail@rel64+4
	s_mov_b32 s32, 0
	s_swap_pc_i64 s[30:31], s[0:1]
	.section	.rodata,"a",@progbits
	.p2align	6, 0x0
	.amdhsa_kernel _Z17wvSplitKQ_hf_sml_I6__halfN3c1013Float8_e4m3fnELi64ELi2ELi16ELi16ELi2ELi2EEviiiPKT0_S5_PT_PKfS9_ii
		.amdhsa_group_segment_fixed_size 0
		.amdhsa_private_segment_fixed_size 64
		.amdhsa_kernarg_size 320
		.amdhsa_user_sgpr_count 2
		.amdhsa_user_sgpr_dispatch_ptr 0
		.amdhsa_user_sgpr_queue_ptr 0
		.amdhsa_user_sgpr_kernarg_segment_ptr 1
		.amdhsa_user_sgpr_dispatch_id 0
		.amdhsa_user_sgpr_kernarg_preload_length 0
		.amdhsa_user_sgpr_kernarg_preload_offset 0
		.amdhsa_user_sgpr_private_segment_size 0
		.amdhsa_wavefront_size32 1
		.amdhsa_uses_dynamic_stack 0
		.amdhsa_enable_private_segment 1
		.amdhsa_system_sgpr_workgroup_id_x 1
		.amdhsa_system_sgpr_workgroup_id_y 0
		.amdhsa_system_sgpr_workgroup_id_z 0
		.amdhsa_system_sgpr_workgroup_info 0
		.amdhsa_system_vgpr_workitem_id 0
		.amdhsa_next_free_vgpr 51
		.amdhsa_next_free_sgpr 34
		.amdhsa_named_barrier_count 0
		.amdhsa_reserve_vcc 1
		.amdhsa_float_round_mode_32 0
		.amdhsa_float_round_mode_16_64 0
		.amdhsa_float_denorm_mode_32 3
		.amdhsa_float_denorm_mode_16_64 3
		.amdhsa_fp16_overflow 0
		.amdhsa_memory_ordered 1
		.amdhsa_forward_progress 1
		.amdhsa_inst_pref_size 1
		.amdhsa_round_robin_scheduling 0
		.amdhsa_exception_fp_ieee_invalid_op 0
		.amdhsa_exception_fp_denorm_src 0
		.amdhsa_exception_fp_ieee_div_zero 0
		.amdhsa_exception_fp_ieee_overflow 0
		.amdhsa_exception_fp_ieee_underflow 0
		.amdhsa_exception_fp_ieee_inexact 0
		.amdhsa_exception_int_div_zero 0
	.end_amdhsa_kernel
	.section	.text._Z17wvSplitKQ_hf_sml_I6__halfN3c1013Float8_e4m3fnELi64ELi2ELi16ELi16ELi2ELi2EEviiiPKT0_S5_PT_PKfS9_ii,"axG",@progbits,_Z17wvSplitKQ_hf_sml_I6__halfN3c1013Float8_e4m3fnELi64ELi2ELi16ELi16ELi2ELi2EEviiiPKT0_S5_PT_PKfS9_ii,comdat
.Lfunc_end36:
	.size	_Z17wvSplitKQ_hf_sml_I6__halfN3c1013Float8_e4m3fnELi64ELi2ELi16ELi16ELi2ELi2EEviiiPKT0_S5_PT_PKfS9_ii, .Lfunc_end36-_Z17wvSplitKQ_hf_sml_I6__halfN3c1013Float8_e4m3fnELi64ELi2ELi16ELi16ELi2ELi2EEviiiPKT0_S5_PT_PKfS9_ii
                                        ; -- End function
	.set _Z17wvSplitKQ_hf_sml_I6__halfN3c1013Float8_e4m3fnELi64ELi2ELi16ELi16ELi2ELi2EEviiiPKT0_S5_PT_PKfS9_ii.num_vgpr, max(3, .L__assert_fail.num_vgpr)
	.set _Z17wvSplitKQ_hf_sml_I6__halfN3c1013Float8_e4m3fnELi64ELi2ELi16ELi16ELi2ELi2EEviiiPKT0_S5_PT_PKfS9_ii.num_agpr, max(0, .L__assert_fail.num_agpr)
	.set _Z17wvSplitKQ_hf_sml_I6__halfN3c1013Float8_e4m3fnELi64ELi2ELi16ELi16ELi2ELi2EEviiiPKT0_S5_PT_PKfS9_ii.numbered_sgpr, max(33, .L__assert_fail.numbered_sgpr)
	.set _Z17wvSplitKQ_hf_sml_I6__halfN3c1013Float8_e4m3fnELi64ELi2ELi16ELi16ELi2ELi2EEviiiPKT0_S5_PT_PKfS9_ii.num_named_barrier, max(0, .L__assert_fail.num_named_barrier)
	.set _Z17wvSplitKQ_hf_sml_I6__halfN3c1013Float8_e4m3fnELi64ELi2ELi16ELi16ELi2ELi2EEviiiPKT0_S5_PT_PKfS9_ii.private_seg_size, 0+max(.L__assert_fail.private_seg_size)
	.set _Z17wvSplitKQ_hf_sml_I6__halfN3c1013Float8_e4m3fnELi64ELi2ELi16ELi16ELi2ELi2EEviiiPKT0_S5_PT_PKfS9_ii.uses_vcc, or(1, .L__assert_fail.uses_vcc)
	.set _Z17wvSplitKQ_hf_sml_I6__halfN3c1013Float8_e4m3fnELi64ELi2ELi16ELi16ELi2ELi2EEviiiPKT0_S5_PT_PKfS9_ii.uses_flat_scratch, or(0, .L__assert_fail.uses_flat_scratch)
	.set _Z17wvSplitKQ_hf_sml_I6__halfN3c1013Float8_e4m3fnELi64ELi2ELi16ELi16ELi2ELi2EEviiiPKT0_S5_PT_PKfS9_ii.has_dyn_sized_stack, or(0, .L__assert_fail.has_dyn_sized_stack)
	.set _Z17wvSplitKQ_hf_sml_I6__halfN3c1013Float8_e4m3fnELi64ELi2ELi16ELi16ELi2ELi2EEviiiPKT0_S5_PT_PKfS9_ii.has_recursion, or(0, .L__assert_fail.has_recursion)
	.set _Z17wvSplitKQ_hf_sml_I6__halfN3c1013Float8_e4m3fnELi64ELi2ELi16ELi16ELi2ELi2EEviiiPKT0_S5_PT_PKfS9_ii.has_indirect_call, or(0, .L__assert_fail.has_indirect_call)
	.section	.AMDGPU.csdata,"",@progbits
; Kernel info:
; codeLenInByte = 64
; TotalNumSgprs: 36
; NumVgprs: 51
; ScratchSize: 64
; MemoryBound: 0
; FloatMode: 240
; IeeeMode: 1
; LDSByteSize: 0 bytes/workgroup (compile time only)
; SGPRBlocks: 0
; VGPRBlocks: 3
; NumSGPRsForWavesPerEU: 36
; NumVGPRsForWavesPerEU: 51
; NamedBarCnt: 0
; Occupancy: 16
; WaveLimiterHint : 1
; COMPUTE_PGM_RSRC2:SCRATCH_EN: 1
; COMPUTE_PGM_RSRC2:USER_SGPR: 2
; COMPUTE_PGM_RSRC2:TRAP_HANDLER: 0
; COMPUTE_PGM_RSRC2:TGID_X_EN: 1
; COMPUTE_PGM_RSRC2:TGID_Y_EN: 0
; COMPUTE_PGM_RSRC2:TGID_Z_EN: 0
; COMPUTE_PGM_RSRC2:TIDIG_COMP_CNT: 0
	.section	.text._Z13wvSplitKQ_hf_I6__halfN3c1013Float8_e4m3fnELi64ELi2ELi16ELi16ELi2ELi2EEviiiPKT0_S5_PT_PKfS9_ii,"axG",@progbits,_Z13wvSplitKQ_hf_I6__halfN3c1013Float8_e4m3fnELi64ELi2ELi16ELi16ELi2ELi2EEviiiPKT0_S5_PT_PKfS9_ii,comdat
	.protected	_Z13wvSplitKQ_hf_I6__halfN3c1013Float8_e4m3fnELi64ELi2ELi16ELi16ELi2ELi2EEviiiPKT0_S5_PT_PKfS9_ii ; -- Begin function _Z13wvSplitKQ_hf_I6__halfN3c1013Float8_e4m3fnELi64ELi2ELi16ELi16ELi2ELi2EEviiiPKT0_S5_PT_PKfS9_ii
	.globl	_Z13wvSplitKQ_hf_I6__halfN3c1013Float8_e4m3fnELi64ELi2ELi16ELi16ELi2ELi2EEviiiPKT0_S5_PT_PKfS9_ii
	.p2align	8
	.type	_Z13wvSplitKQ_hf_I6__halfN3c1013Float8_e4m3fnELi64ELi2ELi16ELi16ELi2ELi2EEviiiPKT0_S5_PT_PKfS9_ii,@function
_Z13wvSplitKQ_hf_I6__halfN3c1013Float8_e4m3fnELi64ELi2ELi16ELi16ELi2ELi2EEviiiPKT0_S5_PT_PKfS9_ii: ; @_Z13wvSplitKQ_hf_I6__halfN3c1013Float8_e4m3fnELi64ELi2ELi16ELi16ELi2ELi2EEviiiPKT0_S5_PT_PKfS9_ii
; %bb.0:
	s_get_pc_i64 s[2:3]
	s_add_nc_u64 s[2:3], s[2:3], __PRETTY_FUNCTION__._Z13wvSplitKQ_hf_I6__halfN3c1013Float8_e4m3fnELi64ELi2ELi16ELi16ELi2ELi2EEviiiPKT0_S5_PT_PKfS9_ii@rel64+4
	s_delay_alu instid0(SALU_CYCLE_1)
	v_dual_mov_b32 v0, 0x66e :: v_dual_mov_b32 v1, s2
	v_mov_b32_e32 v2, s3
	s_add_nc_u64 s[8:9], s[0:1], 64
	s_get_pc_i64 s[0:1]
	s_add_nc_u64 s[0:1], s[0:1], __assert_fail@rel64+4
	s_mov_b32 s32, 0
	s_swap_pc_i64 s[30:31], s[0:1]
	.section	.rodata,"a",@progbits
	.p2align	6, 0x0
	.amdhsa_kernel _Z13wvSplitKQ_hf_I6__halfN3c1013Float8_e4m3fnELi64ELi2ELi16ELi16ELi2ELi2EEviiiPKT0_S5_PT_PKfS9_ii
		.amdhsa_group_segment_fixed_size 0
		.amdhsa_private_segment_fixed_size 64
		.amdhsa_kernarg_size 320
		.amdhsa_user_sgpr_count 2
		.amdhsa_user_sgpr_dispatch_ptr 0
		.amdhsa_user_sgpr_queue_ptr 0
		.amdhsa_user_sgpr_kernarg_segment_ptr 1
		.amdhsa_user_sgpr_dispatch_id 0
		.amdhsa_user_sgpr_kernarg_preload_length 0
		.amdhsa_user_sgpr_kernarg_preload_offset 0
		.amdhsa_user_sgpr_private_segment_size 0
		.amdhsa_wavefront_size32 1
		.amdhsa_uses_dynamic_stack 0
		.amdhsa_enable_private_segment 1
		.amdhsa_system_sgpr_workgroup_id_x 1
		.amdhsa_system_sgpr_workgroup_id_y 0
		.amdhsa_system_sgpr_workgroup_id_z 0
		.amdhsa_system_sgpr_workgroup_info 0
		.amdhsa_system_vgpr_workitem_id 0
		.amdhsa_next_free_vgpr 51
		.amdhsa_next_free_sgpr 34
		.amdhsa_named_barrier_count 0
		.amdhsa_reserve_vcc 1
		.amdhsa_float_round_mode_32 0
		.amdhsa_float_round_mode_16_64 0
		.amdhsa_float_denorm_mode_32 3
		.amdhsa_float_denorm_mode_16_64 3
		.amdhsa_fp16_overflow 0
		.amdhsa_memory_ordered 1
		.amdhsa_forward_progress 1
		.amdhsa_inst_pref_size 1
		.amdhsa_round_robin_scheduling 0
		.amdhsa_exception_fp_ieee_invalid_op 0
		.amdhsa_exception_fp_denorm_src 0
		.amdhsa_exception_fp_ieee_div_zero 0
		.amdhsa_exception_fp_ieee_overflow 0
		.amdhsa_exception_fp_ieee_underflow 0
		.amdhsa_exception_fp_ieee_inexact 0
		.amdhsa_exception_int_div_zero 0
	.end_amdhsa_kernel
	.section	.text._Z13wvSplitKQ_hf_I6__halfN3c1013Float8_e4m3fnELi64ELi2ELi16ELi16ELi2ELi2EEviiiPKT0_S5_PT_PKfS9_ii,"axG",@progbits,_Z13wvSplitKQ_hf_I6__halfN3c1013Float8_e4m3fnELi64ELi2ELi16ELi16ELi2ELi2EEviiiPKT0_S5_PT_PKfS9_ii,comdat
.Lfunc_end37:
	.size	_Z13wvSplitKQ_hf_I6__halfN3c1013Float8_e4m3fnELi64ELi2ELi16ELi16ELi2ELi2EEviiiPKT0_S5_PT_PKfS9_ii, .Lfunc_end37-_Z13wvSplitKQ_hf_I6__halfN3c1013Float8_e4m3fnELi64ELi2ELi16ELi16ELi2ELi2EEviiiPKT0_S5_PT_PKfS9_ii
                                        ; -- End function
	.set _Z13wvSplitKQ_hf_I6__halfN3c1013Float8_e4m3fnELi64ELi2ELi16ELi16ELi2ELi2EEviiiPKT0_S5_PT_PKfS9_ii.num_vgpr, max(3, .L__assert_fail.num_vgpr)
	.set _Z13wvSplitKQ_hf_I6__halfN3c1013Float8_e4m3fnELi64ELi2ELi16ELi16ELi2ELi2EEviiiPKT0_S5_PT_PKfS9_ii.num_agpr, max(0, .L__assert_fail.num_agpr)
	.set _Z13wvSplitKQ_hf_I6__halfN3c1013Float8_e4m3fnELi64ELi2ELi16ELi16ELi2ELi2EEviiiPKT0_S5_PT_PKfS9_ii.numbered_sgpr, max(33, .L__assert_fail.numbered_sgpr)
	.set _Z13wvSplitKQ_hf_I6__halfN3c1013Float8_e4m3fnELi64ELi2ELi16ELi16ELi2ELi2EEviiiPKT0_S5_PT_PKfS9_ii.num_named_barrier, max(0, .L__assert_fail.num_named_barrier)
	.set _Z13wvSplitKQ_hf_I6__halfN3c1013Float8_e4m3fnELi64ELi2ELi16ELi16ELi2ELi2EEviiiPKT0_S5_PT_PKfS9_ii.private_seg_size, 0+max(.L__assert_fail.private_seg_size)
	.set _Z13wvSplitKQ_hf_I6__halfN3c1013Float8_e4m3fnELi64ELi2ELi16ELi16ELi2ELi2EEviiiPKT0_S5_PT_PKfS9_ii.uses_vcc, or(1, .L__assert_fail.uses_vcc)
	.set _Z13wvSplitKQ_hf_I6__halfN3c1013Float8_e4m3fnELi64ELi2ELi16ELi16ELi2ELi2EEviiiPKT0_S5_PT_PKfS9_ii.uses_flat_scratch, or(0, .L__assert_fail.uses_flat_scratch)
	.set _Z13wvSplitKQ_hf_I6__halfN3c1013Float8_e4m3fnELi64ELi2ELi16ELi16ELi2ELi2EEviiiPKT0_S5_PT_PKfS9_ii.has_dyn_sized_stack, or(0, .L__assert_fail.has_dyn_sized_stack)
	.set _Z13wvSplitKQ_hf_I6__halfN3c1013Float8_e4m3fnELi64ELi2ELi16ELi16ELi2ELi2EEviiiPKT0_S5_PT_PKfS9_ii.has_recursion, or(0, .L__assert_fail.has_recursion)
	.set _Z13wvSplitKQ_hf_I6__halfN3c1013Float8_e4m3fnELi64ELi2ELi16ELi16ELi2ELi2EEviiiPKT0_S5_PT_PKfS9_ii.has_indirect_call, or(0, .L__assert_fail.has_indirect_call)
	.section	.AMDGPU.csdata,"",@progbits
; Kernel info:
; codeLenInByte = 64
; TotalNumSgprs: 36
; NumVgprs: 51
; ScratchSize: 64
; MemoryBound: 0
; FloatMode: 240
; IeeeMode: 1
; LDSByteSize: 0 bytes/workgroup (compile time only)
; SGPRBlocks: 0
; VGPRBlocks: 3
; NumSGPRsForWavesPerEU: 36
; NumVGPRsForWavesPerEU: 51
; NamedBarCnt: 0
; Occupancy: 16
; WaveLimiterHint : 1
; COMPUTE_PGM_RSRC2:SCRATCH_EN: 1
; COMPUTE_PGM_RSRC2:USER_SGPR: 2
; COMPUTE_PGM_RSRC2:TRAP_HANDLER: 0
; COMPUTE_PGM_RSRC2:TGID_X_EN: 1
; COMPUTE_PGM_RSRC2:TGID_Y_EN: 0
; COMPUTE_PGM_RSRC2:TGID_Z_EN: 0
; COMPUTE_PGM_RSRC2:TIDIG_COMP_CNT: 0
	.section	.text._Z17wvSplitKQ_hf_sml_I6__halfN3c1013Float8_e4m3fnELi64ELi4ELi16ELi16ELi1ELi3EEviiiPKT0_S5_PT_PKfS9_ii,"axG",@progbits,_Z17wvSplitKQ_hf_sml_I6__halfN3c1013Float8_e4m3fnELi64ELi4ELi16ELi16ELi1ELi3EEviiiPKT0_S5_PT_PKfS9_ii,comdat
	.protected	_Z17wvSplitKQ_hf_sml_I6__halfN3c1013Float8_e4m3fnELi64ELi4ELi16ELi16ELi1ELi3EEviiiPKT0_S5_PT_PKfS9_ii ; -- Begin function _Z17wvSplitKQ_hf_sml_I6__halfN3c1013Float8_e4m3fnELi64ELi4ELi16ELi16ELi1ELi3EEviiiPKT0_S5_PT_PKfS9_ii
	.globl	_Z17wvSplitKQ_hf_sml_I6__halfN3c1013Float8_e4m3fnELi64ELi4ELi16ELi16ELi1ELi3EEviiiPKT0_S5_PT_PKfS9_ii
	.p2align	8
	.type	_Z17wvSplitKQ_hf_sml_I6__halfN3c1013Float8_e4m3fnELi64ELi4ELi16ELi16ELi1ELi3EEviiiPKT0_S5_PT_PKfS9_ii,@function
_Z17wvSplitKQ_hf_sml_I6__halfN3c1013Float8_e4m3fnELi64ELi4ELi16ELi16ELi1ELi3EEviiiPKT0_S5_PT_PKfS9_ii: ; @_Z17wvSplitKQ_hf_sml_I6__halfN3c1013Float8_e4m3fnELi64ELi4ELi16ELi16ELi1ELi3EEviiiPKT0_S5_PT_PKfS9_ii
; %bb.0:
	s_get_pc_i64 s[2:3]
	s_add_nc_u64 s[2:3], s[2:3], __PRETTY_FUNCTION__._Z17wvSplitKQ_hf_sml_I6__halfN3c1013Float8_e4m3fnELi64ELi4ELi16ELi16ELi1ELi3EEviiiPKT0_S5_PT_PKfS9_ii@rel64+4
	s_delay_alu instid0(SALU_CYCLE_1)
	v_dual_mov_b32 v0, 0x5c1 :: v_dual_mov_b32 v1, s2
	v_mov_b32_e32 v2, s3
	s_add_nc_u64 s[8:9], s[0:1], 64
	s_get_pc_i64 s[0:1]
	s_add_nc_u64 s[0:1], s[0:1], __assert_fail@rel64+4
	s_mov_b32 s32, 0
	s_swap_pc_i64 s[30:31], s[0:1]
	.section	.rodata,"a",@progbits
	.p2align	6, 0x0
	.amdhsa_kernel _Z17wvSplitKQ_hf_sml_I6__halfN3c1013Float8_e4m3fnELi64ELi4ELi16ELi16ELi1ELi3EEviiiPKT0_S5_PT_PKfS9_ii
		.amdhsa_group_segment_fixed_size 0
		.amdhsa_private_segment_fixed_size 64
		.amdhsa_kernarg_size 320
		.amdhsa_user_sgpr_count 2
		.amdhsa_user_sgpr_dispatch_ptr 0
		.amdhsa_user_sgpr_queue_ptr 0
		.amdhsa_user_sgpr_kernarg_segment_ptr 1
		.amdhsa_user_sgpr_dispatch_id 0
		.amdhsa_user_sgpr_kernarg_preload_length 0
		.amdhsa_user_sgpr_kernarg_preload_offset 0
		.amdhsa_user_sgpr_private_segment_size 0
		.amdhsa_wavefront_size32 1
		.amdhsa_uses_dynamic_stack 0
		.amdhsa_enable_private_segment 1
		.amdhsa_system_sgpr_workgroup_id_x 1
		.amdhsa_system_sgpr_workgroup_id_y 0
		.amdhsa_system_sgpr_workgroup_id_z 0
		.amdhsa_system_sgpr_workgroup_info 0
		.amdhsa_system_vgpr_workitem_id 0
		.amdhsa_next_free_vgpr 51
		.amdhsa_next_free_sgpr 34
		.amdhsa_named_barrier_count 0
		.amdhsa_reserve_vcc 1
		.amdhsa_float_round_mode_32 0
		.amdhsa_float_round_mode_16_64 0
		.amdhsa_float_denorm_mode_32 3
		.amdhsa_float_denorm_mode_16_64 3
		.amdhsa_fp16_overflow 0
		.amdhsa_memory_ordered 1
		.amdhsa_forward_progress 1
		.amdhsa_inst_pref_size 1
		.amdhsa_round_robin_scheduling 0
		.amdhsa_exception_fp_ieee_invalid_op 0
		.amdhsa_exception_fp_denorm_src 0
		.amdhsa_exception_fp_ieee_div_zero 0
		.amdhsa_exception_fp_ieee_overflow 0
		.amdhsa_exception_fp_ieee_underflow 0
		.amdhsa_exception_fp_ieee_inexact 0
		.amdhsa_exception_int_div_zero 0
	.end_amdhsa_kernel
	.section	.text._Z17wvSplitKQ_hf_sml_I6__halfN3c1013Float8_e4m3fnELi64ELi4ELi16ELi16ELi1ELi3EEviiiPKT0_S5_PT_PKfS9_ii,"axG",@progbits,_Z17wvSplitKQ_hf_sml_I6__halfN3c1013Float8_e4m3fnELi64ELi4ELi16ELi16ELi1ELi3EEviiiPKT0_S5_PT_PKfS9_ii,comdat
.Lfunc_end38:
	.size	_Z17wvSplitKQ_hf_sml_I6__halfN3c1013Float8_e4m3fnELi64ELi4ELi16ELi16ELi1ELi3EEviiiPKT0_S5_PT_PKfS9_ii, .Lfunc_end38-_Z17wvSplitKQ_hf_sml_I6__halfN3c1013Float8_e4m3fnELi64ELi4ELi16ELi16ELi1ELi3EEviiiPKT0_S5_PT_PKfS9_ii
                                        ; -- End function
	.set _Z17wvSplitKQ_hf_sml_I6__halfN3c1013Float8_e4m3fnELi64ELi4ELi16ELi16ELi1ELi3EEviiiPKT0_S5_PT_PKfS9_ii.num_vgpr, max(3, .L__assert_fail.num_vgpr)
	.set _Z17wvSplitKQ_hf_sml_I6__halfN3c1013Float8_e4m3fnELi64ELi4ELi16ELi16ELi1ELi3EEviiiPKT0_S5_PT_PKfS9_ii.num_agpr, max(0, .L__assert_fail.num_agpr)
	.set _Z17wvSplitKQ_hf_sml_I6__halfN3c1013Float8_e4m3fnELi64ELi4ELi16ELi16ELi1ELi3EEviiiPKT0_S5_PT_PKfS9_ii.numbered_sgpr, max(33, .L__assert_fail.numbered_sgpr)
	.set _Z17wvSplitKQ_hf_sml_I6__halfN3c1013Float8_e4m3fnELi64ELi4ELi16ELi16ELi1ELi3EEviiiPKT0_S5_PT_PKfS9_ii.num_named_barrier, max(0, .L__assert_fail.num_named_barrier)
	.set _Z17wvSplitKQ_hf_sml_I6__halfN3c1013Float8_e4m3fnELi64ELi4ELi16ELi16ELi1ELi3EEviiiPKT0_S5_PT_PKfS9_ii.private_seg_size, 0+max(.L__assert_fail.private_seg_size)
	.set _Z17wvSplitKQ_hf_sml_I6__halfN3c1013Float8_e4m3fnELi64ELi4ELi16ELi16ELi1ELi3EEviiiPKT0_S5_PT_PKfS9_ii.uses_vcc, or(1, .L__assert_fail.uses_vcc)
	.set _Z17wvSplitKQ_hf_sml_I6__halfN3c1013Float8_e4m3fnELi64ELi4ELi16ELi16ELi1ELi3EEviiiPKT0_S5_PT_PKfS9_ii.uses_flat_scratch, or(0, .L__assert_fail.uses_flat_scratch)
	.set _Z17wvSplitKQ_hf_sml_I6__halfN3c1013Float8_e4m3fnELi64ELi4ELi16ELi16ELi1ELi3EEviiiPKT0_S5_PT_PKfS9_ii.has_dyn_sized_stack, or(0, .L__assert_fail.has_dyn_sized_stack)
	.set _Z17wvSplitKQ_hf_sml_I6__halfN3c1013Float8_e4m3fnELi64ELi4ELi16ELi16ELi1ELi3EEviiiPKT0_S5_PT_PKfS9_ii.has_recursion, or(0, .L__assert_fail.has_recursion)
	.set _Z17wvSplitKQ_hf_sml_I6__halfN3c1013Float8_e4m3fnELi64ELi4ELi16ELi16ELi1ELi3EEviiiPKT0_S5_PT_PKfS9_ii.has_indirect_call, or(0, .L__assert_fail.has_indirect_call)
	.section	.AMDGPU.csdata,"",@progbits
; Kernel info:
; codeLenInByte = 64
; TotalNumSgprs: 36
; NumVgprs: 51
; ScratchSize: 64
; MemoryBound: 0
; FloatMode: 240
; IeeeMode: 1
; LDSByteSize: 0 bytes/workgroup (compile time only)
; SGPRBlocks: 0
; VGPRBlocks: 3
; NumSGPRsForWavesPerEU: 36
; NumVGPRsForWavesPerEU: 51
; NamedBarCnt: 0
; Occupancy: 16
; WaveLimiterHint : 1
; COMPUTE_PGM_RSRC2:SCRATCH_EN: 1
; COMPUTE_PGM_RSRC2:USER_SGPR: 2
; COMPUTE_PGM_RSRC2:TRAP_HANDLER: 0
; COMPUTE_PGM_RSRC2:TGID_X_EN: 1
; COMPUTE_PGM_RSRC2:TGID_Y_EN: 0
; COMPUTE_PGM_RSRC2:TGID_Z_EN: 0
; COMPUTE_PGM_RSRC2:TIDIG_COMP_CNT: 0
	.section	.text._Z13wvSplitKQ_hf_I6__halfN3c1013Float8_e4m3fnELi64ELi7ELi16ELi16ELi1ELi3EEviiiPKT0_S5_PT_PKfS9_ii,"axG",@progbits,_Z13wvSplitKQ_hf_I6__halfN3c1013Float8_e4m3fnELi64ELi7ELi16ELi16ELi1ELi3EEviiiPKT0_S5_PT_PKfS9_ii,comdat
	.protected	_Z13wvSplitKQ_hf_I6__halfN3c1013Float8_e4m3fnELi64ELi7ELi16ELi16ELi1ELi3EEviiiPKT0_S5_PT_PKfS9_ii ; -- Begin function _Z13wvSplitKQ_hf_I6__halfN3c1013Float8_e4m3fnELi64ELi7ELi16ELi16ELi1ELi3EEviiiPKT0_S5_PT_PKfS9_ii
	.globl	_Z13wvSplitKQ_hf_I6__halfN3c1013Float8_e4m3fnELi64ELi7ELi16ELi16ELi1ELi3EEviiiPKT0_S5_PT_PKfS9_ii
	.p2align	8
	.type	_Z13wvSplitKQ_hf_I6__halfN3c1013Float8_e4m3fnELi64ELi7ELi16ELi16ELi1ELi3EEviiiPKT0_S5_PT_PKfS9_ii,@function
_Z13wvSplitKQ_hf_I6__halfN3c1013Float8_e4m3fnELi64ELi7ELi16ELi16ELi1ELi3EEviiiPKT0_S5_PT_PKfS9_ii: ; @_Z13wvSplitKQ_hf_I6__halfN3c1013Float8_e4m3fnELi64ELi7ELi16ELi16ELi1ELi3EEviiiPKT0_S5_PT_PKfS9_ii
; %bb.0:
	s_get_pc_i64 s[2:3]
	s_add_nc_u64 s[2:3], s[2:3], __PRETTY_FUNCTION__._Z13wvSplitKQ_hf_I6__halfN3c1013Float8_e4m3fnELi64ELi7ELi16ELi16ELi1ELi3EEviiiPKT0_S5_PT_PKfS9_ii@rel64+4
	s_delay_alu instid0(SALU_CYCLE_1)
	v_dual_mov_b32 v0, 0x66e :: v_dual_mov_b32 v1, s2
	v_mov_b32_e32 v2, s3
	s_add_nc_u64 s[8:9], s[0:1], 64
	s_get_pc_i64 s[0:1]
	s_add_nc_u64 s[0:1], s[0:1], __assert_fail@rel64+4
	s_mov_b32 s32, 0
	s_swap_pc_i64 s[30:31], s[0:1]
	.section	.rodata,"a",@progbits
	.p2align	6, 0x0
	.amdhsa_kernel _Z13wvSplitKQ_hf_I6__halfN3c1013Float8_e4m3fnELi64ELi7ELi16ELi16ELi1ELi3EEviiiPKT0_S5_PT_PKfS9_ii
		.amdhsa_group_segment_fixed_size 0
		.amdhsa_private_segment_fixed_size 64
		.amdhsa_kernarg_size 320
		.amdhsa_user_sgpr_count 2
		.amdhsa_user_sgpr_dispatch_ptr 0
		.amdhsa_user_sgpr_queue_ptr 0
		.amdhsa_user_sgpr_kernarg_segment_ptr 1
		.amdhsa_user_sgpr_dispatch_id 0
		.amdhsa_user_sgpr_kernarg_preload_length 0
		.amdhsa_user_sgpr_kernarg_preload_offset 0
		.amdhsa_user_sgpr_private_segment_size 0
		.amdhsa_wavefront_size32 1
		.amdhsa_uses_dynamic_stack 0
		.amdhsa_enable_private_segment 1
		.amdhsa_system_sgpr_workgroup_id_x 1
		.amdhsa_system_sgpr_workgroup_id_y 0
		.amdhsa_system_sgpr_workgroup_id_z 0
		.amdhsa_system_sgpr_workgroup_info 0
		.amdhsa_system_vgpr_workitem_id 0
		.amdhsa_next_free_vgpr 51
		.amdhsa_next_free_sgpr 34
		.amdhsa_named_barrier_count 0
		.amdhsa_reserve_vcc 1
		.amdhsa_float_round_mode_32 0
		.amdhsa_float_round_mode_16_64 0
		.amdhsa_float_denorm_mode_32 3
		.amdhsa_float_denorm_mode_16_64 3
		.amdhsa_fp16_overflow 0
		.amdhsa_memory_ordered 1
		.amdhsa_forward_progress 1
		.amdhsa_inst_pref_size 1
		.amdhsa_round_robin_scheduling 0
		.amdhsa_exception_fp_ieee_invalid_op 0
		.amdhsa_exception_fp_denorm_src 0
		.amdhsa_exception_fp_ieee_div_zero 0
		.amdhsa_exception_fp_ieee_overflow 0
		.amdhsa_exception_fp_ieee_underflow 0
		.amdhsa_exception_fp_ieee_inexact 0
		.amdhsa_exception_int_div_zero 0
	.end_amdhsa_kernel
	.section	.text._Z13wvSplitKQ_hf_I6__halfN3c1013Float8_e4m3fnELi64ELi7ELi16ELi16ELi1ELi3EEviiiPKT0_S5_PT_PKfS9_ii,"axG",@progbits,_Z13wvSplitKQ_hf_I6__halfN3c1013Float8_e4m3fnELi64ELi7ELi16ELi16ELi1ELi3EEviiiPKT0_S5_PT_PKfS9_ii,comdat
.Lfunc_end39:
	.size	_Z13wvSplitKQ_hf_I6__halfN3c1013Float8_e4m3fnELi64ELi7ELi16ELi16ELi1ELi3EEviiiPKT0_S5_PT_PKfS9_ii, .Lfunc_end39-_Z13wvSplitKQ_hf_I6__halfN3c1013Float8_e4m3fnELi64ELi7ELi16ELi16ELi1ELi3EEviiiPKT0_S5_PT_PKfS9_ii
                                        ; -- End function
	.set _Z13wvSplitKQ_hf_I6__halfN3c1013Float8_e4m3fnELi64ELi7ELi16ELi16ELi1ELi3EEviiiPKT0_S5_PT_PKfS9_ii.num_vgpr, max(3, .L__assert_fail.num_vgpr)
	.set _Z13wvSplitKQ_hf_I6__halfN3c1013Float8_e4m3fnELi64ELi7ELi16ELi16ELi1ELi3EEviiiPKT0_S5_PT_PKfS9_ii.num_agpr, max(0, .L__assert_fail.num_agpr)
	.set _Z13wvSplitKQ_hf_I6__halfN3c1013Float8_e4m3fnELi64ELi7ELi16ELi16ELi1ELi3EEviiiPKT0_S5_PT_PKfS9_ii.numbered_sgpr, max(33, .L__assert_fail.numbered_sgpr)
	.set _Z13wvSplitKQ_hf_I6__halfN3c1013Float8_e4m3fnELi64ELi7ELi16ELi16ELi1ELi3EEviiiPKT0_S5_PT_PKfS9_ii.num_named_barrier, max(0, .L__assert_fail.num_named_barrier)
	.set _Z13wvSplitKQ_hf_I6__halfN3c1013Float8_e4m3fnELi64ELi7ELi16ELi16ELi1ELi3EEviiiPKT0_S5_PT_PKfS9_ii.private_seg_size, 0+max(.L__assert_fail.private_seg_size)
	.set _Z13wvSplitKQ_hf_I6__halfN3c1013Float8_e4m3fnELi64ELi7ELi16ELi16ELi1ELi3EEviiiPKT0_S5_PT_PKfS9_ii.uses_vcc, or(1, .L__assert_fail.uses_vcc)
	.set _Z13wvSplitKQ_hf_I6__halfN3c1013Float8_e4m3fnELi64ELi7ELi16ELi16ELi1ELi3EEviiiPKT0_S5_PT_PKfS9_ii.uses_flat_scratch, or(0, .L__assert_fail.uses_flat_scratch)
	.set _Z13wvSplitKQ_hf_I6__halfN3c1013Float8_e4m3fnELi64ELi7ELi16ELi16ELi1ELi3EEviiiPKT0_S5_PT_PKfS9_ii.has_dyn_sized_stack, or(0, .L__assert_fail.has_dyn_sized_stack)
	.set _Z13wvSplitKQ_hf_I6__halfN3c1013Float8_e4m3fnELi64ELi7ELi16ELi16ELi1ELi3EEviiiPKT0_S5_PT_PKfS9_ii.has_recursion, or(0, .L__assert_fail.has_recursion)
	.set _Z13wvSplitKQ_hf_I6__halfN3c1013Float8_e4m3fnELi64ELi7ELi16ELi16ELi1ELi3EEviiiPKT0_S5_PT_PKfS9_ii.has_indirect_call, or(0, .L__assert_fail.has_indirect_call)
	.section	.AMDGPU.csdata,"",@progbits
; Kernel info:
; codeLenInByte = 64
; TotalNumSgprs: 36
; NumVgprs: 51
; ScratchSize: 64
; MemoryBound: 0
; FloatMode: 240
; IeeeMode: 1
; LDSByteSize: 0 bytes/workgroup (compile time only)
; SGPRBlocks: 0
; VGPRBlocks: 3
; NumSGPRsForWavesPerEU: 36
; NumVGPRsForWavesPerEU: 51
; NamedBarCnt: 0
; Occupancy: 16
; WaveLimiterHint : 1
; COMPUTE_PGM_RSRC2:SCRATCH_EN: 1
; COMPUTE_PGM_RSRC2:USER_SGPR: 2
; COMPUTE_PGM_RSRC2:TRAP_HANDLER: 0
; COMPUTE_PGM_RSRC2:TGID_X_EN: 1
; COMPUTE_PGM_RSRC2:TGID_Y_EN: 0
; COMPUTE_PGM_RSRC2:TGID_Z_EN: 0
; COMPUTE_PGM_RSRC2:TIDIG_COMP_CNT: 0
	.section	.text._Z17wvSplitKQ_hf_sml_I6__halfN3c1013Float8_e4m3fnELi64ELi4ELi16ELi16ELi1ELi4EEviiiPKT0_S5_PT_PKfS9_ii,"axG",@progbits,_Z17wvSplitKQ_hf_sml_I6__halfN3c1013Float8_e4m3fnELi64ELi4ELi16ELi16ELi1ELi4EEviiiPKT0_S5_PT_PKfS9_ii,comdat
	.protected	_Z17wvSplitKQ_hf_sml_I6__halfN3c1013Float8_e4m3fnELi64ELi4ELi16ELi16ELi1ELi4EEviiiPKT0_S5_PT_PKfS9_ii ; -- Begin function _Z17wvSplitKQ_hf_sml_I6__halfN3c1013Float8_e4m3fnELi64ELi4ELi16ELi16ELi1ELi4EEviiiPKT0_S5_PT_PKfS9_ii
	.globl	_Z17wvSplitKQ_hf_sml_I6__halfN3c1013Float8_e4m3fnELi64ELi4ELi16ELi16ELi1ELi4EEviiiPKT0_S5_PT_PKfS9_ii
	.p2align	8
	.type	_Z17wvSplitKQ_hf_sml_I6__halfN3c1013Float8_e4m3fnELi64ELi4ELi16ELi16ELi1ELi4EEviiiPKT0_S5_PT_PKfS9_ii,@function
_Z17wvSplitKQ_hf_sml_I6__halfN3c1013Float8_e4m3fnELi64ELi4ELi16ELi16ELi1ELi4EEviiiPKT0_S5_PT_PKfS9_ii: ; @_Z17wvSplitKQ_hf_sml_I6__halfN3c1013Float8_e4m3fnELi64ELi4ELi16ELi16ELi1ELi4EEviiiPKT0_S5_PT_PKfS9_ii
; %bb.0:
	s_get_pc_i64 s[2:3]
	s_add_nc_u64 s[2:3], s[2:3], __PRETTY_FUNCTION__._Z17wvSplitKQ_hf_sml_I6__halfN3c1013Float8_e4m3fnELi64ELi4ELi16ELi16ELi1ELi4EEviiiPKT0_S5_PT_PKfS9_ii@rel64+4
	s_delay_alu instid0(SALU_CYCLE_1)
	v_dual_mov_b32 v0, 0x5c1 :: v_dual_mov_b32 v1, s2
	v_mov_b32_e32 v2, s3
	s_add_nc_u64 s[8:9], s[0:1], 64
	s_get_pc_i64 s[0:1]
	s_add_nc_u64 s[0:1], s[0:1], __assert_fail@rel64+4
	s_mov_b32 s32, 0
	s_swap_pc_i64 s[30:31], s[0:1]
	.section	.rodata,"a",@progbits
	.p2align	6, 0x0
	.amdhsa_kernel _Z17wvSplitKQ_hf_sml_I6__halfN3c1013Float8_e4m3fnELi64ELi4ELi16ELi16ELi1ELi4EEviiiPKT0_S5_PT_PKfS9_ii
		.amdhsa_group_segment_fixed_size 0
		.amdhsa_private_segment_fixed_size 64
		.amdhsa_kernarg_size 320
		.amdhsa_user_sgpr_count 2
		.amdhsa_user_sgpr_dispatch_ptr 0
		.amdhsa_user_sgpr_queue_ptr 0
		.amdhsa_user_sgpr_kernarg_segment_ptr 1
		.amdhsa_user_sgpr_dispatch_id 0
		.amdhsa_user_sgpr_kernarg_preload_length 0
		.amdhsa_user_sgpr_kernarg_preload_offset 0
		.amdhsa_user_sgpr_private_segment_size 0
		.amdhsa_wavefront_size32 1
		.amdhsa_uses_dynamic_stack 0
		.amdhsa_enable_private_segment 1
		.amdhsa_system_sgpr_workgroup_id_x 1
		.amdhsa_system_sgpr_workgroup_id_y 0
		.amdhsa_system_sgpr_workgroup_id_z 0
		.amdhsa_system_sgpr_workgroup_info 0
		.amdhsa_system_vgpr_workitem_id 0
		.amdhsa_next_free_vgpr 51
		.amdhsa_next_free_sgpr 34
		.amdhsa_named_barrier_count 0
		.amdhsa_reserve_vcc 1
		.amdhsa_float_round_mode_32 0
		.amdhsa_float_round_mode_16_64 0
		.amdhsa_float_denorm_mode_32 3
		.amdhsa_float_denorm_mode_16_64 3
		.amdhsa_fp16_overflow 0
		.amdhsa_memory_ordered 1
		.amdhsa_forward_progress 1
		.amdhsa_inst_pref_size 1
		.amdhsa_round_robin_scheduling 0
		.amdhsa_exception_fp_ieee_invalid_op 0
		.amdhsa_exception_fp_denorm_src 0
		.amdhsa_exception_fp_ieee_div_zero 0
		.amdhsa_exception_fp_ieee_overflow 0
		.amdhsa_exception_fp_ieee_underflow 0
		.amdhsa_exception_fp_ieee_inexact 0
		.amdhsa_exception_int_div_zero 0
	.end_amdhsa_kernel
	.section	.text._Z17wvSplitKQ_hf_sml_I6__halfN3c1013Float8_e4m3fnELi64ELi4ELi16ELi16ELi1ELi4EEviiiPKT0_S5_PT_PKfS9_ii,"axG",@progbits,_Z17wvSplitKQ_hf_sml_I6__halfN3c1013Float8_e4m3fnELi64ELi4ELi16ELi16ELi1ELi4EEviiiPKT0_S5_PT_PKfS9_ii,comdat
.Lfunc_end40:
	.size	_Z17wvSplitKQ_hf_sml_I6__halfN3c1013Float8_e4m3fnELi64ELi4ELi16ELi16ELi1ELi4EEviiiPKT0_S5_PT_PKfS9_ii, .Lfunc_end40-_Z17wvSplitKQ_hf_sml_I6__halfN3c1013Float8_e4m3fnELi64ELi4ELi16ELi16ELi1ELi4EEviiiPKT0_S5_PT_PKfS9_ii
                                        ; -- End function
	.set _Z17wvSplitKQ_hf_sml_I6__halfN3c1013Float8_e4m3fnELi64ELi4ELi16ELi16ELi1ELi4EEviiiPKT0_S5_PT_PKfS9_ii.num_vgpr, max(3, .L__assert_fail.num_vgpr)
	.set _Z17wvSplitKQ_hf_sml_I6__halfN3c1013Float8_e4m3fnELi64ELi4ELi16ELi16ELi1ELi4EEviiiPKT0_S5_PT_PKfS9_ii.num_agpr, max(0, .L__assert_fail.num_agpr)
	.set _Z17wvSplitKQ_hf_sml_I6__halfN3c1013Float8_e4m3fnELi64ELi4ELi16ELi16ELi1ELi4EEviiiPKT0_S5_PT_PKfS9_ii.numbered_sgpr, max(33, .L__assert_fail.numbered_sgpr)
	.set _Z17wvSplitKQ_hf_sml_I6__halfN3c1013Float8_e4m3fnELi64ELi4ELi16ELi16ELi1ELi4EEviiiPKT0_S5_PT_PKfS9_ii.num_named_barrier, max(0, .L__assert_fail.num_named_barrier)
	.set _Z17wvSplitKQ_hf_sml_I6__halfN3c1013Float8_e4m3fnELi64ELi4ELi16ELi16ELi1ELi4EEviiiPKT0_S5_PT_PKfS9_ii.private_seg_size, 0+max(.L__assert_fail.private_seg_size)
	.set _Z17wvSplitKQ_hf_sml_I6__halfN3c1013Float8_e4m3fnELi64ELi4ELi16ELi16ELi1ELi4EEviiiPKT0_S5_PT_PKfS9_ii.uses_vcc, or(1, .L__assert_fail.uses_vcc)
	.set _Z17wvSplitKQ_hf_sml_I6__halfN3c1013Float8_e4m3fnELi64ELi4ELi16ELi16ELi1ELi4EEviiiPKT0_S5_PT_PKfS9_ii.uses_flat_scratch, or(0, .L__assert_fail.uses_flat_scratch)
	.set _Z17wvSplitKQ_hf_sml_I6__halfN3c1013Float8_e4m3fnELi64ELi4ELi16ELi16ELi1ELi4EEviiiPKT0_S5_PT_PKfS9_ii.has_dyn_sized_stack, or(0, .L__assert_fail.has_dyn_sized_stack)
	.set _Z17wvSplitKQ_hf_sml_I6__halfN3c1013Float8_e4m3fnELi64ELi4ELi16ELi16ELi1ELi4EEviiiPKT0_S5_PT_PKfS9_ii.has_recursion, or(0, .L__assert_fail.has_recursion)
	.set _Z17wvSplitKQ_hf_sml_I6__halfN3c1013Float8_e4m3fnELi64ELi4ELi16ELi16ELi1ELi4EEviiiPKT0_S5_PT_PKfS9_ii.has_indirect_call, or(0, .L__assert_fail.has_indirect_call)
	.section	.AMDGPU.csdata,"",@progbits
; Kernel info:
; codeLenInByte = 64
; TotalNumSgprs: 36
; NumVgprs: 51
; ScratchSize: 64
; MemoryBound: 0
; FloatMode: 240
; IeeeMode: 1
; LDSByteSize: 0 bytes/workgroup (compile time only)
; SGPRBlocks: 0
; VGPRBlocks: 3
; NumSGPRsForWavesPerEU: 36
; NumVGPRsForWavesPerEU: 51
; NamedBarCnt: 0
; Occupancy: 16
; WaveLimiterHint : 1
; COMPUTE_PGM_RSRC2:SCRATCH_EN: 1
; COMPUTE_PGM_RSRC2:USER_SGPR: 2
; COMPUTE_PGM_RSRC2:TRAP_HANDLER: 0
; COMPUTE_PGM_RSRC2:TGID_X_EN: 1
; COMPUTE_PGM_RSRC2:TGID_Y_EN: 0
; COMPUTE_PGM_RSRC2:TGID_Z_EN: 0
; COMPUTE_PGM_RSRC2:TIDIG_COMP_CNT: 0
	.section	.text._Z13wvSplitKQ_hf_I6__halfN3c1013Float8_e4m3fnELi64ELi7ELi16ELi16ELi1ELi4EEviiiPKT0_S5_PT_PKfS9_ii,"axG",@progbits,_Z13wvSplitKQ_hf_I6__halfN3c1013Float8_e4m3fnELi64ELi7ELi16ELi16ELi1ELi4EEviiiPKT0_S5_PT_PKfS9_ii,comdat
	.protected	_Z13wvSplitKQ_hf_I6__halfN3c1013Float8_e4m3fnELi64ELi7ELi16ELi16ELi1ELi4EEviiiPKT0_S5_PT_PKfS9_ii ; -- Begin function _Z13wvSplitKQ_hf_I6__halfN3c1013Float8_e4m3fnELi64ELi7ELi16ELi16ELi1ELi4EEviiiPKT0_S5_PT_PKfS9_ii
	.globl	_Z13wvSplitKQ_hf_I6__halfN3c1013Float8_e4m3fnELi64ELi7ELi16ELi16ELi1ELi4EEviiiPKT0_S5_PT_PKfS9_ii
	.p2align	8
	.type	_Z13wvSplitKQ_hf_I6__halfN3c1013Float8_e4m3fnELi64ELi7ELi16ELi16ELi1ELi4EEviiiPKT0_S5_PT_PKfS9_ii,@function
_Z13wvSplitKQ_hf_I6__halfN3c1013Float8_e4m3fnELi64ELi7ELi16ELi16ELi1ELi4EEviiiPKT0_S5_PT_PKfS9_ii: ; @_Z13wvSplitKQ_hf_I6__halfN3c1013Float8_e4m3fnELi64ELi7ELi16ELi16ELi1ELi4EEviiiPKT0_S5_PT_PKfS9_ii
; %bb.0:
	s_get_pc_i64 s[2:3]
	s_add_nc_u64 s[2:3], s[2:3], __PRETTY_FUNCTION__._Z13wvSplitKQ_hf_I6__halfN3c1013Float8_e4m3fnELi64ELi7ELi16ELi16ELi1ELi4EEviiiPKT0_S5_PT_PKfS9_ii@rel64+4
	s_delay_alu instid0(SALU_CYCLE_1)
	v_dual_mov_b32 v0, 0x66e :: v_dual_mov_b32 v1, s2
	v_mov_b32_e32 v2, s3
	s_add_nc_u64 s[8:9], s[0:1], 64
	s_get_pc_i64 s[0:1]
	s_add_nc_u64 s[0:1], s[0:1], __assert_fail@rel64+4
	s_mov_b32 s32, 0
	s_swap_pc_i64 s[30:31], s[0:1]
	.section	.rodata,"a",@progbits
	.p2align	6, 0x0
	.amdhsa_kernel _Z13wvSplitKQ_hf_I6__halfN3c1013Float8_e4m3fnELi64ELi7ELi16ELi16ELi1ELi4EEviiiPKT0_S5_PT_PKfS9_ii
		.amdhsa_group_segment_fixed_size 0
		.amdhsa_private_segment_fixed_size 64
		.amdhsa_kernarg_size 320
		.amdhsa_user_sgpr_count 2
		.amdhsa_user_sgpr_dispatch_ptr 0
		.amdhsa_user_sgpr_queue_ptr 0
		.amdhsa_user_sgpr_kernarg_segment_ptr 1
		.amdhsa_user_sgpr_dispatch_id 0
		.amdhsa_user_sgpr_kernarg_preload_length 0
		.amdhsa_user_sgpr_kernarg_preload_offset 0
		.amdhsa_user_sgpr_private_segment_size 0
		.amdhsa_wavefront_size32 1
		.amdhsa_uses_dynamic_stack 0
		.amdhsa_enable_private_segment 1
		.amdhsa_system_sgpr_workgroup_id_x 1
		.amdhsa_system_sgpr_workgroup_id_y 0
		.amdhsa_system_sgpr_workgroup_id_z 0
		.amdhsa_system_sgpr_workgroup_info 0
		.amdhsa_system_vgpr_workitem_id 0
		.amdhsa_next_free_vgpr 51
		.amdhsa_next_free_sgpr 34
		.amdhsa_named_barrier_count 0
		.amdhsa_reserve_vcc 1
		.amdhsa_float_round_mode_32 0
		.amdhsa_float_round_mode_16_64 0
		.amdhsa_float_denorm_mode_32 3
		.amdhsa_float_denorm_mode_16_64 3
		.amdhsa_fp16_overflow 0
		.amdhsa_memory_ordered 1
		.amdhsa_forward_progress 1
		.amdhsa_inst_pref_size 1
		.amdhsa_round_robin_scheduling 0
		.amdhsa_exception_fp_ieee_invalid_op 0
		.amdhsa_exception_fp_denorm_src 0
		.amdhsa_exception_fp_ieee_div_zero 0
		.amdhsa_exception_fp_ieee_overflow 0
		.amdhsa_exception_fp_ieee_underflow 0
		.amdhsa_exception_fp_ieee_inexact 0
		.amdhsa_exception_int_div_zero 0
	.end_amdhsa_kernel
	.section	.text._Z13wvSplitKQ_hf_I6__halfN3c1013Float8_e4m3fnELi64ELi7ELi16ELi16ELi1ELi4EEviiiPKT0_S5_PT_PKfS9_ii,"axG",@progbits,_Z13wvSplitKQ_hf_I6__halfN3c1013Float8_e4m3fnELi64ELi7ELi16ELi16ELi1ELi4EEviiiPKT0_S5_PT_PKfS9_ii,comdat
.Lfunc_end41:
	.size	_Z13wvSplitKQ_hf_I6__halfN3c1013Float8_e4m3fnELi64ELi7ELi16ELi16ELi1ELi4EEviiiPKT0_S5_PT_PKfS9_ii, .Lfunc_end41-_Z13wvSplitKQ_hf_I6__halfN3c1013Float8_e4m3fnELi64ELi7ELi16ELi16ELi1ELi4EEviiiPKT0_S5_PT_PKfS9_ii
                                        ; -- End function
	.set _Z13wvSplitKQ_hf_I6__halfN3c1013Float8_e4m3fnELi64ELi7ELi16ELi16ELi1ELi4EEviiiPKT0_S5_PT_PKfS9_ii.num_vgpr, max(3, .L__assert_fail.num_vgpr)
	.set _Z13wvSplitKQ_hf_I6__halfN3c1013Float8_e4m3fnELi64ELi7ELi16ELi16ELi1ELi4EEviiiPKT0_S5_PT_PKfS9_ii.num_agpr, max(0, .L__assert_fail.num_agpr)
	.set _Z13wvSplitKQ_hf_I6__halfN3c1013Float8_e4m3fnELi64ELi7ELi16ELi16ELi1ELi4EEviiiPKT0_S5_PT_PKfS9_ii.numbered_sgpr, max(33, .L__assert_fail.numbered_sgpr)
	.set _Z13wvSplitKQ_hf_I6__halfN3c1013Float8_e4m3fnELi64ELi7ELi16ELi16ELi1ELi4EEviiiPKT0_S5_PT_PKfS9_ii.num_named_barrier, max(0, .L__assert_fail.num_named_barrier)
	.set _Z13wvSplitKQ_hf_I6__halfN3c1013Float8_e4m3fnELi64ELi7ELi16ELi16ELi1ELi4EEviiiPKT0_S5_PT_PKfS9_ii.private_seg_size, 0+max(.L__assert_fail.private_seg_size)
	.set _Z13wvSplitKQ_hf_I6__halfN3c1013Float8_e4m3fnELi64ELi7ELi16ELi16ELi1ELi4EEviiiPKT0_S5_PT_PKfS9_ii.uses_vcc, or(1, .L__assert_fail.uses_vcc)
	.set _Z13wvSplitKQ_hf_I6__halfN3c1013Float8_e4m3fnELi64ELi7ELi16ELi16ELi1ELi4EEviiiPKT0_S5_PT_PKfS9_ii.uses_flat_scratch, or(0, .L__assert_fail.uses_flat_scratch)
	.set _Z13wvSplitKQ_hf_I6__halfN3c1013Float8_e4m3fnELi64ELi7ELi16ELi16ELi1ELi4EEviiiPKT0_S5_PT_PKfS9_ii.has_dyn_sized_stack, or(0, .L__assert_fail.has_dyn_sized_stack)
	.set _Z13wvSplitKQ_hf_I6__halfN3c1013Float8_e4m3fnELi64ELi7ELi16ELi16ELi1ELi4EEviiiPKT0_S5_PT_PKfS9_ii.has_recursion, or(0, .L__assert_fail.has_recursion)
	.set _Z13wvSplitKQ_hf_I6__halfN3c1013Float8_e4m3fnELi64ELi7ELi16ELi16ELi1ELi4EEviiiPKT0_S5_PT_PKfS9_ii.has_indirect_call, or(0, .L__assert_fail.has_indirect_call)
	.section	.AMDGPU.csdata,"",@progbits
; Kernel info:
; codeLenInByte = 64
; TotalNumSgprs: 36
; NumVgprs: 51
; ScratchSize: 64
; MemoryBound: 0
; FloatMode: 240
; IeeeMode: 1
; LDSByteSize: 0 bytes/workgroup (compile time only)
; SGPRBlocks: 0
; VGPRBlocks: 3
; NumSGPRsForWavesPerEU: 36
; NumVGPRsForWavesPerEU: 51
; NamedBarCnt: 0
; Occupancy: 16
; WaveLimiterHint : 1
; COMPUTE_PGM_RSRC2:SCRATCH_EN: 1
; COMPUTE_PGM_RSRC2:USER_SGPR: 2
; COMPUTE_PGM_RSRC2:TRAP_HANDLER: 0
; COMPUTE_PGM_RSRC2:TGID_X_EN: 1
; COMPUTE_PGM_RSRC2:TGID_Y_EN: 0
; COMPUTE_PGM_RSRC2:TGID_Z_EN: 0
; COMPUTE_PGM_RSRC2:TIDIG_COMP_CNT: 0
	.section	.text._Z17wvSplitKQ_hf_sml_I6__halfN3c1015Float8_e4m3fnuzELi64ELi2ELi16ELi16ELi2ELi1EEviiiPKT0_S5_PT_PKfS9_ii,"axG",@progbits,_Z17wvSplitKQ_hf_sml_I6__halfN3c1015Float8_e4m3fnuzELi64ELi2ELi16ELi16ELi2ELi1EEviiiPKT0_S5_PT_PKfS9_ii,comdat
	.protected	_Z17wvSplitKQ_hf_sml_I6__halfN3c1015Float8_e4m3fnuzELi64ELi2ELi16ELi16ELi2ELi1EEviiiPKT0_S5_PT_PKfS9_ii ; -- Begin function _Z17wvSplitKQ_hf_sml_I6__halfN3c1015Float8_e4m3fnuzELi64ELi2ELi16ELi16ELi2ELi1EEviiiPKT0_S5_PT_PKfS9_ii
	.globl	_Z17wvSplitKQ_hf_sml_I6__halfN3c1015Float8_e4m3fnuzELi64ELi2ELi16ELi16ELi2ELi1EEviiiPKT0_S5_PT_PKfS9_ii
	.p2align	8
	.type	_Z17wvSplitKQ_hf_sml_I6__halfN3c1015Float8_e4m3fnuzELi64ELi2ELi16ELi16ELi2ELi1EEviiiPKT0_S5_PT_PKfS9_ii,@function
_Z17wvSplitKQ_hf_sml_I6__halfN3c1015Float8_e4m3fnuzELi64ELi2ELi16ELi16ELi2ELi1EEviiiPKT0_S5_PT_PKfS9_ii: ; @_Z17wvSplitKQ_hf_sml_I6__halfN3c1015Float8_e4m3fnuzELi64ELi2ELi16ELi16ELi2ELi1EEviiiPKT0_S5_PT_PKfS9_ii
; %bb.0:
	s_get_pc_i64 s[2:3]
	s_add_nc_u64 s[2:3], s[2:3], __PRETTY_FUNCTION__._Z17wvSplitKQ_hf_sml_I6__halfN3c1015Float8_e4m3fnuzELi64ELi2ELi16ELi16ELi2ELi1EEviiiPKT0_S5_PT_PKfS9_ii@rel64+4
	s_delay_alu instid0(SALU_CYCLE_1)
	v_dual_mov_b32 v0, 0x5c1 :: v_dual_mov_b32 v1, s2
	v_mov_b32_e32 v2, s3
	s_add_nc_u64 s[8:9], s[0:1], 64
	s_get_pc_i64 s[0:1]
	s_add_nc_u64 s[0:1], s[0:1], __assert_fail@rel64+4
	s_mov_b32 s32, 0
	s_swap_pc_i64 s[30:31], s[0:1]
	.section	.rodata,"a",@progbits
	.p2align	6, 0x0
	.amdhsa_kernel _Z17wvSplitKQ_hf_sml_I6__halfN3c1015Float8_e4m3fnuzELi64ELi2ELi16ELi16ELi2ELi1EEviiiPKT0_S5_PT_PKfS9_ii
		.amdhsa_group_segment_fixed_size 0
		.amdhsa_private_segment_fixed_size 64
		.amdhsa_kernarg_size 320
		.amdhsa_user_sgpr_count 2
		.amdhsa_user_sgpr_dispatch_ptr 0
		.amdhsa_user_sgpr_queue_ptr 0
		.amdhsa_user_sgpr_kernarg_segment_ptr 1
		.amdhsa_user_sgpr_dispatch_id 0
		.amdhsa_user_sgpr_kernarg_preload_length 0
		.amdhsa_user_sgpr_kernarg_preload_offset 0
		.amdhsa_user_sgpr_private_segment_size 0
		.amdhsa_wavefront_size32 1
		.amdhsa_uses_dynamic_stack 0
		.amdhsa_enable_private_segment 1
		.amdhsa_system_sgpr_workgroup_id_x 1
		.amdhsa_system_sgpr_workgroup_id_y 0
		.amdhsa_system_sgpr_workgroup_id_z 0
		.amdhsa_system_sgpr_workgroup_info 0
		.amdhsa_system_vgpr_workitem_id 0
		.amdhsa_next_free_vgpr 51
		.amdhsa_next_free_sgpr 34
		.amdhsa_named_barrier_count 0
		.amdhsa_reserve_vcc 1
		.amdhsa_float_round_mode_32 0
		.amdhsa_float_round_mode_16_64 0
		.amdhsa_float_denorm_mode_32 3
		.amdhsa_float_denorm_mode_16_64 3
		.amdhsa_fp16_overflow 0
		.amdhsa_memory_ordered 1
		.amdhsa_forward_progress 1
		.amdhsa_inst_pref_size 1
		.amdhsa_round_robin_scheduling 0
		.amdhsa_exception_fp_ieee_invalid_op 0
		.amdhsa_exception_fp_denorm_src 0
		.amdhsa_exception_fp_ieee_div_zero 0
		.amdhsa_exception_fp_ieee_overflow 0
		.amdhsa_exception_fp_ieee_underflow 0
		.amdhsa_exception_fp_ieee_inexact 0
		.amdhsa_exception_int_div_zero 0
	.end_amdhsa_kernel
	.section	.text._Z17wvSplitKQ_hf_sml_I6__halfN3c1015Float8_e4m3fnuzELi64ELi2ELi16ELi16ELi2ELi1EEviiiPKT0_S5_PT_PKfS9_ii,"axG",@progbits,_Z17wvSplitKQ_hf_sml_I6__halfN3c1015Float8_e4m3fnuzELi64ELi2ELi16ELi16ELi2ELi1EEviiiPKT0_S5_PT_PKfS9_ii,comdat
.Lfunc_end42:
	.size	_Z17wvSplitKQ_hf_sml_I6__halfN3c1015Float8_e4m3fnuzELi64ELi2ELi16ELi16ELi2ELi1EEviiiPKT0_S5_PT_PKfS9_ii, .Lfunc_end42-_Z17wvSplitKQ_hf_sml_I6__halfN3c1015Float8_e4m3fnuzELi64ELi2ELi16ELi16ELi2ELi1EEviiiPKT0_S5_PT_PKfS9_ii
                                        ; -- End function
	.set _Z17wvSplitKQ_hf_sml_I6__halfN3c1015Float8_e4m3fnuzELi64ELi2ELi16ELi16ELi2ELi1EEviiiPKT0_S5_PT_PKfS9_ii.num_vgpr, max(3, .L__assert_fail.num_vgpr)
	.set _Z17wvSplitKQ_hf_sml_I6__halfN3c1015Float8_e4m3fnuzELi64ELi2ELi16ELi16ELi2ELi1EEviiiPKT0_S5_PT_PKfS9_ii.num_agpr, max(0, .L__assert_fail.num_agpr)
	.set _Z17wvSplitKQ_hf_sml_I6__halfN3c1015Float8_e4m3fnuzELi64ELi2ELi16ELi16ELi2ELi1EEviiiPKT0_S5_PT_PKfS9_ii.numbered_sgpr, max(33, .L__assert_fail.numbered_sgpr)
	.set _Z17wvSplitKQ_hf_sml_I6__halfN3c1015Float8_e4m3fnuzELi64ELi2ELi16ELi16ELi2ELi1EEviiiPKT0_S5_PT_PKfS9_ii.num_named_barrier, max(0, .L__assert_fail.num_named_barrier)
	.set _Z17wvSplitKQ_hf_sml_I6__halfN3c1015Float8_e4m3fnuzELi64ELi2ELi16ELi16ELi2ELi1EEviiiPKT0_S5_PT_PKfS9_ii.private_seg_size, 0+max(.L__assert_fail.private_seg_size)
	.set _Z17wvSplitKQ_hf_sml_I6__halfN3c1015Float8_e4m3fnuzELi64ELi2ELi16ELi16ELi2ELi1EEviiiPKT0_S5_PT_PKfS9_ii.uses_vcc, or(1, .L__assert_fail.uses_vcc)
	.set _Z17wvSplitKQ_hf_sml_I6__halfN3c1015Float8_e4m3fnuzELi64ELi2ELi16ELi16ELi2ELi1EEviiiPKT0_S5_PT_PKfS9_ii.uses_flat_scratch, or(0, .L__assert_fail.uses_flat_scratch)
	.set _Z17wvSplitKQ_hf_sml_I6__halfN3c1015Float8_e4m3fnuzELi64ELi2ELi16ELi16ELi2ELi1EEviiiPKT0_S5_PT_PKfS9_ii.has_dyn_sized_stack, or(0, .L__assert_fail.has_dyn_sized_stack)
	.set _Z17wvSplitKQ_hf_sml_I6__halfN3c1015Float8_e4m3fnuzELi64ELi2ELi16ELi16ELi2ELi1EEviiiPKT0_S5_PT_PKfS9_ii.has_recursion, or(0, .L__assert_fail.has_recursion)
	.set _Z17wvSplitKQ_hf_sml_I6__halfN3c1015Float8_e4m3fnuzELi64ELi2ELi16ELi16ELi2ELi1EEviiiPKT0_S5_PT_PKfS9_ii.has_indirect_call, or(0, .L__assert_fail.has_indirect_call)
	.section	.AMDGPU.csdata,"",@progbits
; Kernel info:
; codeLenInByte = 64
; TotalNumSgprs: 36
; NumVgprs: 51
; ScratchSize: 64
; MemoryBound: 0
; FloatMode: 240
; IeeeMode: 1
; LDSByteSize: 0 bytes/workgroup (compile time only)
; SGPRBlocks: 0
; VGPRBlocks: 3
; NumSGPRsForWavesPerEU: 36
; NumVGPRsForWavesPerEU: 51
; NamedBarCnt: 0
; Occupancy: 16
; WaveLimiterHint : 1
; COMPUTE_PGM_RSRC2:SCRATCH_EN: 1
; COMPUTE_PGM_RSRC2:USER_SGPR: 2
; COMPUTE_PGM_RSRC2:TRAP_HANDLER: 0
; COMPUTE_PGM_RSRC2:TGID_X_EN: 1
; COMPUTE_PGM_RSRC2:TGID_Y_EN: 0
; COMPUTE_PGM_RSRC2:TGID_Z_EN: 0
; COMPUTE_PGM_RSRC2:TIDIG_COMP_CNT: 0
	.section	.text._Z13wvSplitKQ_hf_I6__halfN3c1015Float8_e4m3fnuzELi64ELi2ELi16ELi16ELi2ELi1EEviiiPKT0_S5_PT_PKfS9_ii,"axG",@progbits,_Z13wvSplitKQ_hf_I6__halfN3c1015Float8_e4m3fnuzELi64ELi2ELi16ELi16ELi2ELi1EEviiiPKT0_S5_PT_PKfS9_ii,comdat
	.protected	_Z13wvSplitKQ_hf_I6__halfN3c1015Float8_e4m3fnuzELi64ELi2ELi16ELi16ELi2ELi1EEviiiPKT0_S5_PT_PKfS9_ii ; -- Begin function _Z13wvSplitKQ_hf_I6__halfN3c1015Float8_e4m3fnuzELi64ELi2ELi16ELi16ELi2ELi1EEviiiPKT0_S5_PT_PKfS9_ii
	.globl	_Z13wvSplitKQ_hf_I6__halfN3c1015Float8_e4m3fnuzELi64ELi2ELi16ELi16ELi2ELi1EEviiiPKT0_S5_PT_PKfS9_ii
	.p2align	8
	.type	_Z13wvSplitKQ_hf_I6__halfN3c1015Float8_e4m3fnuzELi64ELi2ELi16ELi16ELi2ELi1EEviiiPKT0_S5_PT_PKfS9_ii,@function
_Z13wvSplitKQ_hf_I6__halfN3c1015Float8_e4m3fnuzELi64ELi2ELi16ELi16ELi2ELi1EEviiiPKT0_S5_PT_PKfS9_ii: ; @_Z13wvSplitKQ_hf_I6__halfN3c1015Float8_e4m3fnuzELi64ELi2ELi16ELi16ELi2ELi1EEviiiPKT0_S5_PT_PKfS9_ii
; %bb.0:
	s_get_pc_i64 s[2:3]
	s_add_nc_u64 s[2:3], s[2:3], __PRETTY_FUNCTION__._Z13wvSplitKQ_hf_I6__halfN3c1015Float8_e4m3fnuzELi64ELi2ELi16ELi16ELi2ELi1EEviiiPKT0_S5_PT_PKfS9_ii@rel64+4
	s_delay_alu instid0(SALU_CYCLE_1)
	v_dual_mov_b32 v0, 0x66e :: v_dual_mov_b32 v1, s2
	v_mov_b32_e32 v2, s3
	s_add_nc_u64 s[8:9], s[0:1], 64
	s_get_pc_i64 s[0:1]
	s_add_nc_u64 s[0:1], s[0:1], __assert_fail@rel64+4
	s_mov_b32 s32, 0
	s_swap_pc_i64 s[30:31], s[0:1]
	.section	.rodata,"a",@progbits
	.p2align	6, 0x0
	.amdhsa_kernel _Z13wvSplitKQ_hf_I6__halfN3c1015Float8_e4m3fnuzELi64ELi2ELi16ELi16ELi2ELi1EEviiiPKT0_S5_PT_PKfS9_ii
		.amdhsa_group_segment_fixed_size 0
		.amdhsa_private_segment_fixed_size 64
		.amdhsa_kernarg_size 320
		.amdhsa_user_sgpr_count 2
		.amdhsa_user_sgpr_dispatch_ptr 0
		.amdhsa_user_sgpr_queue_ptr 0
		.amdhsa_user_sgpr_kernarg_segment_ptr 1
		.amdhsa_user_sgpr_dispatch_id 0
		.amdhsa_user_sgpr_kernarg_preload_length 0
		.amdhsa_user_sgpr_kernarg_preload_offset 0
		.amdhsa_user_sgpr_private_segment_size 0
		.amdhsa_wavefront_size32 1
		.amdhsa_uses_dynamic_stack 0
		.amdhsa_enable_private_segment 1
		.amdhsa_system_sgpr_workgroup_id_x 1
		.amdhsa_system_sgpr_workgroup_id_y 0
		.amdhsa_system_sgpr_workgroup_id_z 0
		.amdhsa_system_sgpr_workgroup_info 0
		.amdhsa_system_vgpr_workitem_id 0
		.amdhsa_next_free_vgpr 51
		.amdhsa_next_free_sgpr 34
		.amdhsa_named_barrier_count 0
		.amdhsa_reserve_vcc 1
		.amdhsa_float_round_mode_32 0
		.amdhsa_float_round_mode_16_64 0
		.amdhsa_float_denorm_mode_32 3
		.amdhsa_float_denorm_mode_16_64 3
		.amdhsa_fp16_overflow 0
		.amdhsa_memory_ordered 1
		.amdhsa_forward_progress 1
		.amdhsa_inst_pref_size 1
		.amdhsa_round_robin_scheduling 0
		.amdhsa_exception_fp_ieee_invalid_op 0
		.amdhsa_exception_fp_denorm_src 0
		.amdhsa_exception_fp_ieee_div_zero 0
		.amdhsa_exception_fp_ieee_overflow 0
		.amdhsa_exception_fp_ieee_underflow 0
		.amdhsa_exception_fp_ieee_inexact 0
		.amdhsa_exception_int_div_zero 0
	.end_amdhsa_kernel
	.section	.text._Z13wvSplitKQ_hf_I6__halfN3c1015Float8_e4m3fnuzELi64ELi2ELi16ELi16ELi2ELi1EEviiiPKT0_S5_PT_PKfS9_ii,"axG",@progbits,_Z13wvSplitKQ_hf_I6__halfN3c1015Float8_e4m3fnuzELi64ELi2ELi16ELi16ELi2ELi1EEviiiPKT0_S5_PT_PKfS9_ii,comdat
.Lfunc_end43:
	.size	_Z13wvSplitKQ_hf_I6__halfN3c1015Float8_e4m3fnuzELi64ELi2ELi16ELi16ELi2ELi1EEviiiPKT0_S5_PT_PKfS9_ii, .Lfunc_end43-_Z13wvSplitKQ_hf_I6__halfN3c1015Float8_e4m3fnuzELi64ELi2ELi16ELi16ELi2ELi1EEviiiPKT0_S5_PT_PKfS9_ii
                                        ; -- End function
	.set _Z13wvSplitKQ_hf_I6__halfN3c1015Float8_e4m3fnuzELi64ELi2ELi16ELi16ELi2ELi1EEviiiPKT0_S5_PT_PKfS9_ii.num_vgpr, max(3, .L__assert_fail.num_vgpr)
	.set _Z13wvSplitKQ_hf_I6__halfN3c1015Float8_e4m3fnuzELi64ELi2ELi16ELi16ELi2ELi1EEviiiPKT0_S5_PT_PKfS9_ii.num_agpr, max(0, .L__assert_fail.num_agpr)
	.set _Z13wvSplitKQ_hf_I6__halfN3c1015Float8_e4m3fnuzELi64ELi2ELi16ELi16ELi2ELi1EEviiiPKT0_S5_PT_PKfS9_ii.numbered_sgpr, max(33, .L__assert_fail.numbered_sgpr)
	.set _Z13wvSplitKQ_hf_I6__halfN3c1015Float8_e4m3fnuzELi64ELi2ELi16ELi16ELi2ELi1EEviiiPKT0_S5_PT_PKfS9_ii.num_named_barrier, max(0, .L__assert_fail.num_named_barrier)
	.set _Z13wvSplitKQ_hf_I6__halfN3c1015Float8_e4m3fnuzELi64ELi2ELi16ELi16ELi2ELi1EEviiiPKT0_S5_PT_PKfS9_ii.private_seg_size, 0+max(.L__assert_fail.private_seg_size)
	.set _Z13wvSplitKQ_hf_I6__halfN3c1015Float8_e4m3fnuzELi64ELi2ELi16ELi16ELi2ELi1EEviiiPKT0_S5_PT_PKfS9_ii.uses_vcc, or(1, .L__assert_fail.uses_vcc)
	.set _Z13wvSplitKQ_hf_I6__halfN3c1015Float8_e4m3fnuzELi64ELi2ELi16ELi16ELi2ELi1EEviiiPKT0_S5_PT_PKfS9_ii.uses_flat_scratch, or(0, .L__assert_fail.uses_flat_scratch)
	.set _Z13wvSplitKQ_hf_I6__halfN3c1015Float8_e4m3fnuzELi64ELi2ELi16ELi16ELi2ELi1EEviiiPKT0_S5_PT_PKfS9_ii.has_dyn_sized_stack, or(0, .L__assert_fail.has_dyn_sized_stack)
	.set _Z13wvSplitKQ_hf_I6__halfN3c1015Float8_e4m3fnuzELi64ELi2ELi16ELi16ELi2ELi1EEviiiPKT0_S5_PT_PKfS9_ii.has_recursion, or(0, .L__assert_fail.has_recursion)
	.set _Z13wvSplitKQ_hf_I6__halfN3c1015Float8_e4m3fnuzELi64ELi2ELi16ELi16ELi2ELi1EEviiiPKT0_S5_PT_PKfS9_ii.has_indirect_call, or(0, .L__assert_fail.has_indirect_call)
	.section	.AMDGPU.csdata,"",@progbits
; Kernel info:
; codeLenInByte = 64
; TotalNumSgprs: 36
; NumVgprs: 51
; ScratchSize: 64
; MemoryBound: 0
; FloatMode: 240
; IeeeMode: 1
; LDSByteSize: 0 bytes/workgroup (compile time only)
; SGPRBlocks: 0
; VGPRBlocks: 3
; NumSGPRsForWavesPerEU: 36
; NumVGPRsForWavesPerEU: 51
; NamedBarCnt: 0
; Occupancy: 16
; WaveLimiterHint : 1
; COMPUTE_PGM_RSRC2:SCRATCH_EN: 1
; COMPUTE_PGM_RSRC2:USER_SGPR: 2
; COMPUTE_PGM_RSRC2:TRAP_HANDLER: 0
; COMPUTE_PGM_RSRC2:TGID_X_EN: 1
; COMPUTE_PGM_RSRC2:TGID_Y_EN: 0
; COMPUTE_PGM_RSRC2:TGID_Z_EN: 0
; COMPUTE_PGM_RSRC2:TIDIG_COMP_CNT: 0
	.section	.text._Z17wvSplitKQ_hf_sml_I6__halfN3c1015Float8_e4m3fnuzELi64ELi2ELi16ELi16ELi2ELi2EEviiiPKT0_S5_PT_PKfS9_ii,"axG",@progbits,_Z17wvSplitKQ_hf_sml_I6__halfN3c1015Float8_e4m3fnuzELi64ELi2ELi16ELi16ELi2ELi2EEviiiPKT0_S5_PT_PKfS9_ii,comdat
	.protected	_Z17wvSplitKQ_hf_sml_I6__halfN3c1015Float8_e4m3fnuzELi64ELi2ELi16ELi16ELi2ELi2EEviiiPKT0_S5_PT_PKfS9_ii ; -- Begin function _Z17wvSplitKQ_hf_sml_I6__halfN3c1015Float8_e4m3fnuzELi64ELi2ELi16ELi16ELi2ELi2EEviiiPKT0_S5_PT_PKfS9_ii
	.globl	_Z17wvSplitKQ_hf_sml_I6__halfN3c1015Float8_e4m3fnuzELi64ELi2ELi16ELi16ELi2ELi2EEviiiPKT0_S5_PT_PKfS9_ii
	.p2align	8
	.type	_Z17wvSplitKQ_hf_sml_I6__halfN3c1015Float8_e4m3fnuzELi64ELi2ELi16ELi16ELi2ELi2EEviiiPKT0_S5_PT_PKfS9_ii,@function
_Z17wvSplitKQ_hf_sml_I6__halfN3c1015Float8_e4m3fnuzELi64ELi2ELi16ELi16ELi2ELi2EEviiiPKT0_S5_PT_PKfS9_ii: ; @_Z17wvSplitKQ_hf_sml_I6__halfN3c1015Float8_e4m3fnuzELi64ELi2ELi16ELi16ELi2ELi2EEviiiPKT0_S5_PT_PKfS9_ii
; %bb.0:
	s_get_pc_i64 s[2:3]
	s_add_nc_u64 s[2:3], s[2:3], __PRETTY_FUNCTION__._Z17wvSplitKQ_hf_sml_I6__halfN3c1015Float8_e4m3fnuzELi64ELi2ELi16ELi16ELi2ELi2EEviiiPKT0_S5_PT_PKfS9_ii@rel64+4
	s_delay_alu instid0(SALU_CYCLE_1)
	v_dual_mov_b32 v0, 0x5c1 :: v_dual_mov_b32 v1, s2
	v_mov_b32_e32 v2, s3
	s_add_nc_u64 s[8:9], s[0:1], 64
	s_get_pc_i64 s[0:1]
	s_add_nc_u64 s[0:1], s[0:1], __assert_fail@rel64+4
	s_mov_b32 s32, 0
	s_swap_pc_i64 s[30:31], s[0:1]
	.section	.rodata,"a",@progbits
	.p2align	6, 0x0
	.amdhsa_kernel _Z17wvSplitKQ_hf_sml_I6__halfN3c1015Float8_e4m3fnuzELi64ELi2ELi16ELi16ELi2ELi2EEviiiPKT0_S5_PT_PKfS9_ii
		.amdhsa_group_segment_fixed_size 0
		.amdhsa_private_segment_fixed_size 64
		.amdhsa_kernarg_size 320
		.amdhsa_user_sgpr_count 2
		.amdhsa_user_sgpr_dispatch_ptr 0
		.amdhsa_user_sgpr_queue_ptr 0
		.amdhsa_user_sgpr_kernarg_segment_ptr 1
		.amdhsa_user_sgpr_dispatch_id 0
		.amdhsa_user_sgpr_kernarg_preload_length 0
		.amdhsa_user_sgpr_kernarg_preload_offset 0
		.amdhsa_user_sgpr_private_segment_size 0
		.amdhsa_wavefront_size32 1
		.amdhsa_uses_dynamic_stack 0
		.amdhsa_enable_private_segment 1
		.amdhsa_system_sgpr_workgroup_id_x 1
		.amdhsa_system_sgpr_workgroup_id_y 0
		.amdhsa_system_sgpr_workgroup_id_z 0
		.amdhsa_system_sgpr_workgroup_info 0
		.amdhsa_system_vgpr_workitem_id 0
		.amdhsa_next_free_vgpr 51
		.amdhsa_next_free_sgpr 34
		.amdhsa_named_barrier_count 0
		.amdhsa_reserve_vcc 1
		.amdhsa_float_round_mode_32 0
		.amdhsa_float_round_mode_16_64 0
		.amdhsa_float_denorm_mode_32 3
		.amdhsa_float_denorm_mode_16_64 3
		.amdhsa_fp16_overflow 0
		.amdhsa_memory_ordered 1
		.amdhsa_forward_progress 1
		.amdhsa_inst_pref_size 1
		.amdhsa_round_robin_scheduling 0
		.amdhsa_exception_fp_ieee_invalid_op 0
		.amdhsa_exception_fp_denorm_src 0
		.amdhsa_exception_fp_ieee_div_zero 0
		.amdhsa_exception_fp_ieee_overflow 0
		.amdhsa_exception_fp_ieee_underflow 0
		.amdhsa_exception_fp_ieee_inexact 0
		.amdhsa_exception_int_div_zero 0
	.end_amdhsa_kernel
	.section	.text._Z17wvSplitKQ_hf_sml_I6__halfN3c1015Float8_e4m3fnuzELi64ELi2ELi16ELi16ELi2ELi2EEviiiPKT0_S5_PT_PKfS9_ii,"axG",@progbits,_Z17wvSplitKQ_hf_sml_I6__halfN3c1015Float8_e4m3fnuzELi64ELi2ELi16ELi16ELi2ELi2EEviiiPKT0_S5_PT_PKfS9_ii,comdat
.Lfunc_end44:
	.size	_Z17wvSplitKQ_hf_sml_I6__halfN3c1015Float8_e4m3fnuzELi64ELi2ELi16ELi16ELi2ELi2EEviiiPKT0_S5_PT_PKfS9_ii, .Lfunc_end44-_Z17wvSplitKQ_hf_sml_I6__halfN3c1015Float8_e4m3fnuzELi64ELi2ELi16ELi16ELi2ELi2EEviiiPKT0_S5_PT_PKfS9_ii
                                        ; -- End function
	.set _Z17wvSplitKQ_hf_sml_I6__halfN3c1015Float8_e4m3fnuzELi64ELi2ELi16ELi16ELi2ELi2EEviiiPKT0_S5_PT_PKfS9_ii.num_vgpr, max(3, .L__assert_fail.num_vgpr)
	.set _Z17wvSplitKQ_hf_sml_I6__halfN3c1015Float8_e4m3fnuzELi64ELi2ELi16ELi16ELi2ELi2EEviiiPKT0_S5_PT_PKfS9_ii.num_agpr, max(0, .L__assert_fail.num_agpr)
	.set _Z17wvSplitKQ_hf_sml_I6__halfN3c1015Float8_e4m3fnuzELi64ELi2ELi16ELi16ELi2ELi2EEviiiPKT0_S5_PT_PKfS9_ii.numbered_sgpr, max(33, .L__assert_fail.numbered_sgpr)
	.set _Z17wvSplitKQ_hf_sml_I6__halfN3c1015Float8_e4m3fnuzELi64ELi2ELi16ELi16ELi2ELi2EEviiiPKT0_S5_PT_PKfS9_ii.num_named_barrier, max(0, .L__assert_fail.num_named_barrier)
	.set _Z17wvSplitKQ_hf_sml_I6__halfN3c1015Float8_e4m3fnuzELi64ELi2ELi16ELi16ELi2ELi2EEviiiPKT0_S5_PT_PKfS9_ii.private_seg_size, 0+max(.L__assert_fail.private_seg_size)
	.set _Z17wvSplitKQ_hf_sml_I6__halfN3c1015Float8_e4m3fnuzELi64ELi2ELi16ELi16ELi2ELi2EEviiiPKT0_S5_PT_PKfS9_ii.uses_vcc, or(1, .L__assert_fail.uses_vcc)
	.set _Z17wvSplitKQ_hf_sml_I6__halfN3c1015Float8_e4m3fnuzELi64ELi2ELi16ELi16ELi2ELi2EEviiiPKT0_S5_PT_PKfS9_ii.uses_flat_scratch, or(0, .L__assert_fail.uses_flat_scratch)
	.set _Z17wvSplitKQ_hf_sml_I6__halfN3c1015Float8_e4m3fnuzELi64ELi2ELi16ELi16ELi2ELi2EEviiiPKT0_S5_PT_PKfS9_ii.has_dyn_sized_stack, or(0, .L__assert_fail.has_dyn_sized_stack)
	.set _Z17wvSplitKQ_hf_sml_I6__halfN3c1015Float8_e4m3fnuzELi64ELi2ELi16ELi16ELi2ELi2EEviiiPKT0_S5_PT_PKfS9_ii.has_recursion, or(0, .L__assert_fail.has_recursion)
	.set _Z17wvSplitKQ_hf_sml_I6__halfN3c1015Float8_e4m3fnuzELi64ELi2ELi16ELi16ELi2ELi2EEviiiPKT0_S5_PT_PKfS9_ii.has_indirect_call, or(0, .L__assert_fail.has_indirect_call)
	.section	.AMDGPU.csdata,"",@progbits
; Kernel info:
; codeLenInByte = 64
; TotalNumSgprs: 36
; NumVgprs: 51
; ScratchSize: 64
; MemoryBound: 0
; FloatMode: 240
; IeeeMode: 1
; LDSByteSize: 0 bytes/workgroup (compile time only)
; SGPRBlocks: 0
; VGPRBlocks: 3
; NumSGPRsForWavesPerEU: 36
; NumVGPRsForWavesPerEU: 51
; NamedBarCnt: 0
; Occupancy: 16
; WaveLimiterHint : 1
; COMPUTE_PGM_RSRC2:SCRATCH_EN: 1
; COMPUTE_PGM_RSRC2:USER_SGPR: 2
; COMPUTE_PGM_RSRC2:TRAP_HANDLER: 0
; COMPUTE_PGM_RSRC2:TGID_X_EN: 1
; COMPUTE_PGM_RSRC2:TGID_Y_EN: 0
; COMPUTE_PGM_RSRC2:TGID_Z_EN: 0
; COMPUTE_PGM_RSRC2:TIDIG_COMP_CNT: 0
	.section	.text._Z13wvSplitKQ_hf_I6__halfN3c1015Float8_e4m3fnuzELi64ELi2ELi16ELi16ELi2ELi2EEviiiPKT0_S5_PT_PKfS9_ii,"axG",@progbits,_Z13wvSplitKQ_hf_I6__halfN3c1015Float8_e4m3fnuzELi64ELi2ELi16ELi16ELi2ELi2EEviiiPKT0_S5_PT_PKfS9_ii,comdat
	.protected	_Z13wvSplitKQ_hf_I6__halfN3c1015Float8_e4m3fnuzELi64ELi2ELi16ELi16ELi2ELi2EEviiiPKT0_S5_PT_PKfS9_ii ; -- Begin function _Z13wvSplitKQ_hf_I6__halfN3c1015Float8_e4m3fnuzELi64ELi2ELi16ELi16ELi2ELi2EEviiiPKT0_S5_PT_PKfS9_ii
	.globl	_Z13wvSplitKQ_hf_I6__halfN3c1015Float8_e4m3fnuzELi64ELi2ELi16ELi16ELi2ELi2EEviiiPKT0_S5_PT_PKfS9_ii
	.p2align	8
	.type	_Z13wvSplitKQ_hf_I6__halfN3c1015Float8_e4m3fnuzELi64ELi2ELi16ELi16ELi2ELi2EEviiiPKT0_S5_PT_PKfS9_ii,@function
_Z13wvSplitKQ_hf_I6__halfN3c1015Float8_e4m3fnuzELi64ELi2ELi16ELi16ELi2ELi2EEviiiPKT0_S5_PT_PKfS9_ii: ; @_Z13wvSplitKQ_hf_I6__halfN3c1015Float8_e4m3fnuzELi64ELi2ELi16ELi16ELi2ELi2EEviiiPKT0_S5_PT_PKfS9_ii
; %bb.0:
	s_get_pc_i64 s[2:3]
	s_add_nc_u64 s[2:3], s[2:3], __PRETTY_FUNCTION__._Z13wvSplitKQ_hf_I6__halfN3c1015Float8_e4m3fnuzELi64ELi2ELi16ELi16ELi2ELi2EEviiiPKT0_S5_PT_PKfS9_ii@rel64+4
	s_delay_alu instid0(SALU_CYCLE_1)
	v_dual_mov_b32 v0, 0x66e :: v_dual_mov_b32 v1, s2
	v_mov_b32_e32 v2, s3
	s_add_nc_u64 s[8:9], s[0:1], 64
	s_get_pc_i64 s[0:1]
	s_add_nc_u64 s[0:1], s[0:1], __assert_fail@rel64+4
	s_mov_b32 s32, 0
	s_swap_pc_i64 s[30:31], s[0:1]
	.section	.rodata,"a",@progbits
	.p2align	6, 0x0
	.amdhsa_kernel _Z13wvSplitKQ_hf_I6__halfN3c1015Float8_e4m3fnuzELi64ELi2ELi16ELi16ELi2ELi2EEviiiPKT0_S5_PT_PKfS9_ii
		.amdhsa_group_segment_fixed_size 0
		.amdhsa_private_segment_fixed_size 64
		.amdhsa_kernarg_size 320
		.amdhsa_user_sgpr_count 2
		.amdhsa_user_sgpr_dispatch_ptr 0
		.amdhsa_user_sgpr_queue_ptr 0
		.amdhsa_user_sgpr_kernarg_segment_ptr 1
		.amdhsa_user_sgpr_dispatch_id 0
		.amdhsa_user_sgpr_kernarg_preload_length 0
		.amdhsa_user_sgpr_kernarg_preload_offset 0
		.amdhsa_user_sgpr_private_segment_size 0
		.amdhsa_wavefront_size32 1
		.amdhsa_uses_dynamic_stack 0
		.amdhsa_enable_private_segment 1
		.amdhsa_system_sgpr_workgroup_id_x 1
		.amdhsa_system_sgpr_workgroup_id_y 0
		.amdhsa_system_sgpr_workgroup_id_z 0
		.amdhsa_system_sgpr_workgroup_info 0
		.amdhsa_system_vgpr_workitem_id 0
		.amdhsa_next_free_vgpr 51
		.amdhsa_next_free_sgpr 34
		.amdhsa_named_barrier_count 0
		.amdhsa_reserve_vcc 1
		.amdhsa_float_round_mode_32 0
		.amdhsa_float_round_mode_16_64 0
		.amdhsa_float_denorm_mode_32 3
		.amdhsa_float_denorm_mode_16_64 3
		.amdhsa_fp16_overflow 0
		.amdhsa_memory_ordered 1
		.amdhsa_forward_progress 1
		.amdhsa_inst_pref_size 1
		.amdhsa_round_robin_scheduling 0
		.amdhsa_exception_fp_ieee_invalid_op 0
		.amdhsa_exception_fp_denorm_src 0
		.amdhsa_exception_fp_ieee_div_zero 0
		.amdhsa_exception_fp_ieee_overflow 0
		.amdhsa_exception_fp_ieee_underflow 0
		.amdhsa_exception_fp_ieee_inexact 0
		.amdhsa_exception_int_div_zero 0
	.end_amdhsa_kernel
	.section	.text._Z13wvSplitKQ_hf_I6__halfN3c1015Float8_e4m3fnuzELi64ELi2ELi16ELi16ELi2ELi2EEviiiPKT0_S5_PT_PKfS9_ii,"axG",@progbits,_Z13wvSplitKQ_hf_I6__halfN3c1015Float8_e4m3fnuzELi64ELi2ELi16ELi16ELi2ELi2EEviiiPKT0_S5_PT_PKfS9_ii,comdat
.Lfunc_end45:
	.size	_Z13wvSplitKQ_hf_I6__halfN3c1015Float8_e4m3fnuzELi64ELi2ELi16ELi16ELi2ELi2EEviiiPKT0_S5_PT_PKfS9_ii, .Lfunc_end45-_Z13wvSplitKQ_hf_I6__halfN3c1015Float8_e4m3fnuzELi64ELi2ELi16ELi16ELi2ELi2EEviiiPKT0_S5_PT_PKfS9_ii
                                        ; -- End function
	.set _Z13wvSplitKQ_hf_I6__halfN3c1015Float8_e4m3fnuzELi64ELi2ELi16ELi16ELi2ELi2EEviiiPKT0_S5_PT_PKfS9_ii.num_vgpr, max(3, .L__assert_fail.num_vgpr)
	.set _Z13wvSplitKQ_hf_I6__halfN3c1015Float8_e4m3fnuzELi64ELi2ELi16ELi16ELi2ELi2EEviiiPKT0_S5_PT_PKfS9_ii.num_agpr, max(0, .L__assert_fail.num_agpr)
	.set _Z13wvSplitKQ_hf_I6__halfN3c1015Float8_e4m3fnuzELi64ELi2ELi16ELi16ELi2ELi2EEviiiPKT0_S5_PT_PKfS9_ii.numbered_sgpr, max(33, .L__assert_fail.numbered_sgpr)
	.set _Z13wvSplitKQ_hf_I6__halfN3c1015Float8_e4m3fnuzELi64ELi2ELi16ELi16ELi2ELi2EEviiiPKT0_S5_PT_PKfS9_ii.num_named_barrier, max(0, .L__assert_fail.num_named_barrier)
	.set _Z13wvSplitKQ_hf_I6__halfN3c1015Float8_e4m3fnuzELi64ELi2ELi16ELi16ELi2ELi2EEviiiPKT0_S5_PT_PKfS9_ii.private_seg_size, 0+max(.L__assert_fail.private_seg_size)
	.set _Z13wvSplitKQ_hf_I6__halfN3c1015Float8_e4m3fnuzELi64ELi2ELi16ELi16ELi2ELi2EEviiiPKT0_S5_PT_PKfS9_ii.uses_vcc, or(1, .L__assert_fail.uses_vcc)
	.set _Z13wvSplitKQ_hf_I6__halfN3c1015Float8_e4m3fnuzELi64ELi2ELi16ELi16ELi2ELi2EEviiiPKT0_S5_PT_PKfS9_ii.uses_flat_scratch, or(0, .L__assert_fail.uses_flat_scratch)
	.set _Z13wvSplitKQ_hf_I6__halfN3c1015Float8_e4m3fnuzELi64ELi2ELi16ELi16ELi2ELi2EEviiiPKT0_S5_PT_PKfS9_ii.has_dyn_sized_stack, or(0, .L__assert_fail.has_dyn_sized_stack)
	.set _Z13wvSplitKQ_hf_I6__halfN3c1015Float8_e4m3fnuzELi64ELi2ELi16ELi16ELi2ELi2EEviiiPKT0_S5_PT_PKfS9_ii.has_recursion, or(0, .L__assert_fail.has_recursion)
	.set _Z13wvSplitKQ_hf_I6__halfN3c1015Float8_e4m3fnuzELi64ELi2ELi16ELi16ELi2ELi2EEviiiPKT0_S5_PT_PKfS9_ii.has_indirect_call, or(0, .L__assert_fail.has_indirect_call)
	.section	.AMDGPU.csdata,"",@progbits
; Kernel info:
; codeLenInByte = 64
; TotalNumSgprs: 36
; NumVgprs: 51
; ScratchSize: 64
; MemoryBound: 0
; FloatMode: 240
; IeeeMode: 1
; LDSByteSize: 0 bytes/workgroup (compile time only)
; SGPRBlocks: 0
; VGPRBlocks: 3
; NumSGPRsForWavesPerEU: 36
; NumVGPRsForWavesPerEU: 51
; NamedBarCnt: 0
; Occupancy: 16
; WaveLimiterHint : 1
; COMPUTE_PGM_RSRC2:SCRATCH_EN: 1
; COMPUTE_PGM_RSRC2:USER_SGPR: 2
; COMPUTE_PGM_RSRC2:TRAP_HANDLER: 0
; COMPUTE_PGM_RSRC2:TGID_X_EN: 1
; COMPUTE_PGM_RSRC2:TGID_Y_EN: 0
; COMPUTE_PGM_RSRC2:TGID_Z_EN: 0
; COMPUTE_PGM_RSRC2:TIDIG_COMP_CNT: 0
	.section	.text._Z17wvSplitKQ_hf_sml_I6__halfN3c1015Float8_e4m3fnuzELi64ELi4ELi16ELi16ELi1ELi3EEviiiPKT0_S5_PT_PKfS9_ii,"axG",@progbits,_Z17wvSplitKQ_hf_sml_I6__halfN3c1015Float8_e4m3fnuzELi64ELi4ELi16ELi16ELi1ELi3EEviiiPKT0_S5_PT_PKfS9_ii,comdat
	.protected	_Z17wvSplitKQ_hf_sml_I6__halfN3c1015Float8_e4m3fnuzELi64ELi4ELi16ELi16ELi1ELi3EEviiiPKT0_S5_PT_PKfS9_ii ; -- Begin function _Z17wvSplitKQ_hf_sml_I6__halfN3c1015Float8_e4m3fnuzELi64ELi4ELi16ELi16ELi1ELi3EEviiiPKT0_S5_PT_PKfS9_ii
	.globl	_Z17wvSplitKQ_hf_sml_I6__halfN3c1015Float8_e4m3fnuzELi64ELi4ELi16ELi16ELi1ELi3EEviiiPKT0_S5_PT_PKfS9_ii
	.p2align	8
	.type	_Z17wvSplitKQ_hf_sml_I6__halfN3c1015Float8_e4m3fnuzELi64ELi4ELi16ELi16ELi1ELi3EEviiiPKT0_S5_PT_PKfS9_ii,@function
_Z17wvSplitKQ_hf_sml_I6__halfN3c1015Float8_e4m3fnuzELi64ELi4ELi16ELi16ELi1ELi3EEviiiPKT0_S5_PT_PKfS9_ii: ; @_Z17wvSplitKQ_hf_sml_I6__halfN3c1015Float8_e4m3fnuzELi64ELi4ELi16ELi16ELi1ELi3EEviiiPKT0_S5_PT_PKfS9_ii
; %bb.0:
	s_get_pc_i64 s[2:3]
	s_add_nc_u64 s[2:3], s[2:3], __PRETTY_FUNCTION__._Z17wvSplitKQ_hf_sml_I6__halfN3c1015Float8_e4m3fnuzELi64ELi4ELi16ELi16ELi1ELi3EEviiiPKT0_S5_PT_PKfS9_ii@rel64+4
	s_delay_alu instid0(SALU_CYCLE_1)
	v_dual_mov_b32 v0, 0x5c1 :: v_dual_mov_b32 v1, s2
	v_mov_b32_e32 v2, s3
	s_add_nc_u64 s[8:9], s[0:1], 64
	s_get_pc_i64 s[0:1]
	s_add_nc_u64 s[0:1], s[0:1], __assert_fail@rel64+4
	s_mov_b32 s32, 0
	s_swap_pc_i64 s[30:31], s[0:1]
	.section	.rodata,"a",@progbits
	.p2align	6, 0x0
	.amdhsa_kernel _Z17wvSplitKQ_hf_sml_I6__halfN3c1015Float8_e4m3fnuzELi64ELi4ELi16ELi16ELi1ELi3EEviiiPKT0_S5_PT_PKfS9_ii
		.amdhsa_group_segment_fixed_size 0
		.amdhsa_private_segment_fixed_size 64
		.amdhsa_kernarg_size 320
		.amdhsa_user_sgpr_count 2
		.amdhsa_user_sgpr_dispatch_ptr 0
		.amdhsa_user_sgpr_queue_ptr 0
		.amdhsa_user_sgpr_kernarg_segment_ptr 1
		.amdhsa_user_sgpr_dispatch_id 0
		.amdhsa_user_sgpr_kernarg_preload_length 0
		.amdhsa_user_sgpr_kernarg_preload_offset 0
		.amdhsa_user_sgpr_private_segment_size 0
		.amdhsa_wavefront_size32 1
		.amdhsa_uses_dynamic_stack 0
		.amdhsa_enable_private_segment 1
		.amdhsa_system_sgpr_workgroup_id_x 1
		.amdhsa_system_sgpr_workgroup_id_y 0
		.amdhsa_system_sgpr_workgroup_id_z 0
		.amdhsa_system_sgpr_workgroup_info 0
		.amdhsa_system_vgpr_workitem_id 0
		.amdhsa_next_free_vgpr 51
		.amdhsa_next_free_sgpr 34
		.amdhsa_named_barrier_count 0
		.amdhsa_reserve_vcc 1
		.amdhsa_float_round_mode_32 0
		.amdhsa_float_round_mode_16_64 0
		.amdhsa_float_denorm_mode_32 3
		.amdhsa_float_denorm_mode_16_64 3
		.amdhsa_fp16_overflow 0
		.amdhsa_memory_ordered 1
		.amdhsa_forward_progress 1
		.amdhsa_inst_pref_size 1
		.amdhsa_round_robin_scheduling 0
		.amdhsa_exception_fp_ieee_invalid_op 0
		.amdhsa_exception_fp_denorm_src 0
		.amdhsa_exception_fp_ieee_div_zero 0
		.amdhsa_exception_fp_ieee_overflow 0
		.amdhsa_exception_fp_ieee_underflow 0
		.amdhsa_exception_fp_ieee_inexact 0
		.amdhsa_exception_int_div_zero 0
	.end_amdhsa_kernel
	.section	.text._Z17wvSplitKQ_hf_sml_I6__halfN3c1015Float8_e4m3fnuzELi64ELi4ELi16ELi16ELi1ELi3EEviiiPKT0_S5_PT_PKfS9_ii,"axG",@progbits,_Z17wvSplitKQ_hf_sml_I6__halfN3c1015Float8_e4m3fnuzELi64ELi4ELi16ELi16ELi1ELi3EEviiiPKT0_S5_PT_PKfS9_ii,comdat
.Lfunc_end46:
	.size	_Z17wvSplitKQ_hf_sml_I6__halfN3c1015Float8_e4m3fnuzELi64ELi4ELi16ELi16ELi1ELi3EEviiiPKT0_S5_PT_PKfS9_ii, .Lfunc_end46-_Z17wvSplitKQ_hf_sml_I6__halfN3c1015Float8_e4m3fnuzELi64ELi4ELi16ELi16ELi1ELi3EEviiiPKT0_S5_PT_PKfS9_ii
                                        ; -- End function
	.set _Z17wvSplitKQ_hf_sml_I6__halfN3c1015Float8_e4m3fnuzELi64ELi4ELi16ELi16ELi1ELi3EEviiiPKT0_S5_PT_PKfS9_ii.num_vgpr, max(3, .L__assert_fail.num_vgpr)
	.set _Z17wvSplitKQ_hf_sml_I6__halfN3c1015Float8_e4m3fnuzELi64ELi4ELi16ELi16ELi1ELi3EEviiiPKT0_S5_PT_PKfS9_ii.num_agpr, max(0, .L__assert_fail.num_agpr)
	.set _Z17wvSplitKQ_hf_sml_I6__halfN3c1015Float8_e4m3fnuzELi64ELi4ELi16ELi16ELi1ELi3EEviiiPKT0_S5_PT_PKfS9_ii.numbered_sgpr, max(33, .L__assert_fail.numbered_sgpr)
	.set _Z17wvSplitKQ_hf_sml_I6__halfN3c1015Float8_e4m3fnuzELi64ELi4ELi16ELi16ELi1ELi3EEviiiPKT0_S5_PT_PKfS9_ii.num_named_barrier, max(0, .L__assert_fail.num_named_barrier)
	.set _Z17wvSplitKQ_hf_sml_I6__halfN3c1015Float8_e4m3fnuzELi64ELi4ELi16ELi16ELi1ELi3EEviiiPKT0_S5_PT_PKfS9_ii.private_seg_size, 0+max(.L__assert_fail.private_seg_size)
	.set _Z17wvSplitKQ_hf_sml_I6__halfN3c1015Float8_e4m3fnuzELi64ELi4ELi16ELi16ELi1ELi3EEviiiPKT0_S5_PT_PKfS9_ii.uses_vcc, or(1, .L__assert_fail.uses_vcc)
	.set _Z17wvSplitKQ_hf_sml_I6__halfN3c1015Float8_e4m3fnuzELi64ELi4ELi16ELi16ELi1ELi3EEviiiPKT0_S5_PT_PKfS9_ii.uses_flat_scratch, or(0, .L__assert_fail.uses_flat_scratch)
	.set _Z17wvSplitKQ_hf_sml_I6__halfN3c1015Float8_e4m3fnuzELi64ELi4ELi16ELi16ELi1ELi3EEviiiPKT0_S5_PT_PKfS9_ii.has_dyn_sized_stack, or(0, .L__assert_fail.has_dyn_sized_stack)
	.set _Z17wvSplitKQ_hf_sml_I6__halfN3c1015Float8_e4m3fnuzELi64ELi4ELi16ELi16ELi1ELi3EEviiiPKT0_S5_PT_PKfS9_ii.has_recursion, or(0, .L__assert_fail.has_recursion)
	.set _Z17wvSplitKQ_hf_sml_I6__halfN3c1015Float8_e4m3fnuzELi64ELi4ELi16ELi16ELi1ELi3EEviiiPKT0_S5_PT_PKfS9_ii.has_indirect_call, or(0, .L__assert_fail.has_indirect_call)
	.section	.AMDGPU.csdata,"",@progbits
; Kernel info:
; codeLenInByte = 64
; TotalNumSgprs: 36
; NumVgprs: 51
; ScratchSize: 64
; MemoryBound: 0
; FloatMode: 240
; IeeeMode: 1
; LDSByteSize: 0 bytes/workgroup (compile time only)
; SGPRBlocks: 0
; VGPRBlocks: 3
; NumSGPRsForWavesPerEU: 36
; NumVGPRsForWavesPerEU: 51
; NamedBarCnt: 0
; Occupancy: 16
; WaveLimiterHint : 1
; COMPUTE_PGM_RSRC2:SCRATCH_EN: 1
; COMPUTE_PGM_RSRC2:USER_SGPR: 2
; COMPUTE_PGM_RSRC2:TRAP_HANDLER: 0
; COMPUTE_PGM_RSRC2:TGID_X_EN: 1
; COMPUTE_PGM_RSRC2:TGID_Y_EN: 0
; COMPUTE_PGM_RSRC2:TGID_Z_EN: 0
; COMPUTE_PGM_RSRC2:TIDIG_COMP_CNT: 0
	.section	.text._Z13wvSplitKQ_hf_I6__halfN3c1015Float8_e4m3fnuzELi64ELi7ELi16ELi16ELi1ELi3EEviiiPKT0_S5_PT_PKfS9_ii,"axG",@progbits,_Z13wvSplitKQ_hf_I6__halfN3c1015Float8_e4m3fnuzELi64ELi7ELi16ELi16ELi1ELi3EEviiiPKT0_S5_PT_PKfS9_ii,comdat
	.protected	_Z13wvSplitKQ_hf_I6__halfN3c1015Float8_e4m3fnuzELi64ELi7ELi16ELi16ELi1ELi3EEviiiPKT0_S5_PT_PKfS9_ii ; -- Begin function _Z13wvSplitKQ_hf_I6__halfN3c1015Float8_e4m3fnuzELi64ELi7ELi16ELi16ELi1ELi3EEviiiPKT0_S5_PT_PKfS9_ii
	.globl	_Z13wvSplitKQ_hf_I6__halfN3c1015Float8_e4m3fnuzELi64ELi7ELi16ELi16ELi1ELi3EEviiiPKT0_S5_PT_PKfS9_ii
	.p2align	8
	.type	_Z13wvSplitKQ_hf_I6__halfN3c1015Float8_e4m3fnuzELi64ELi7ELi16ELi16ELi1ELi3EEviiiPKT0_S5_PT_PKfS9_ii,@function
_Z13wvSplitKQ_hf_I6__halfN3c1015Float8_e4m3fnuzELi64ELi7ELi16ELi16ELi1ELi3EEviiiPKT0_S5_PT_PKfS9_ii: ; @_Z13wvSplitKQ_hf_I6__halfN3c1015Float8_e4m3fnuzELi64ELi7ELi16ELi16ELi1ELi3EEviiiPKT0_S5_PT_PKfS9_ii
; %bb.0:
	s_get_pc_i64 s[2:3]
	s_add_nc_u64 s[2:3], s[2:3], __PRETTY_FUNCTION__._Z13wvSplitKQ_hf_I6__halfN3c1015Float8_e4m3fnuzELi64ELi7ELi16ELi16ELi1ELi3EEviiiPKT0_S5_PT_PKfS9_ii@rel64+4
	s_delay_alu instid0(SALU_CYCLE_1)
	v_dual_mov_b32 v0, 0x66e :: v_dual_mov_b32 v1, s2
	v_mov_b32_e32 v2, s3
	s_add_nc_u64 s[8:9], s[0:1], 64
	s_get_pc_i64 s[0:1]
	s_add_nc_u64 s[0:1], s[0:1], __assert_fail@rel64+4
	s_mov_b32 s32, 0
	s_swap_pc_i64 s[30:31], s[0:1]
	.section	.rodata,"a",@progbits
	.p2align	6, 0x0
	.amdhsa_kernel _Z13wvSplitKQ_hf_I6__halfN3c1015Float8_e4m3fnuzELi64ELi7ELi16ELi16ELi1ELi3EEviiiPKT0_S5_PT_PKfS9_ii
		.amdhsa_group_segment_fixed_size 0
		.amdhsa_private_segment_fixed_size 64
		.amdhsa_kernarg_size 320
		.amdhsa_user_sgpr_count 2
		.amdhsa_user_sgpr_dispatch_ptr 0
		.amdhsa_user_sgpr_queue_ptr 0
		.amdhsa_user_sgpr_kernarg_segment_ptr 1
		.amdhsa_user_sgpr_dispatch_id 0
		.amdhsa_user_sgpr_kernarg_preload_length 0
		.amdhsa_user_sgpr_kernarg_preload_offset 0
		.amdhsa_user_sgpr_private_segment_size 0
		.amdhsa_wavefront_size32 1
		.amdhsa_uses_dynamic_stack 0
		.amdhsa_enable_private_segment 1
		.amdhsa_system_sgpr_workgroup_id_x 1
		.amdhsa_system_sgpr_workgroup_id_y 0
		.amdhsa_system_sgpr_workgroup_id_z 0
		.amdhsa_system_sgpr_workgroup_info 0
		.amdhsa_system_vgpr_workitem_id 0
		.amdhsa_next_free_vgpr 51
		.amdhsa_next_free_sgpr 34
		.amdhsa_named_barrier_count 0
		.amdhsa_reserve_vcc 1
		.amdhsa_float_round_mode_32 0
		.amdhsa_float_round_mode_16_64 0
		.amdhsa_float_denorm_mode_32 3
		.amdhsa_float_denorm_mode_16_64 3
		.amdhsa_fp16_overflow 0
		.amdhsa_memory_ordered 1
		.amdhsa_forward_progress 1
		.amdhsa_inst_pref_size 1
		.amdhsa_round_robin_scheduling 0
		.amdhsa_exception_fp_ieee_invalid_op 0
		.amdhsa_exception_fp_denorm_src 0
		.amdhsa_exception_fp_ieee_div_zero 0
		.amdhsa_exception_fp_ieee_overflow 0
		.amdhsa_exception_fp_ieee_underflow 0
		.amdhsa_exception_fp_ieee_inexact 0
		.amdhsa_exception_int_div_zero 0
	.end_amdhsa_kernel
	.section	.text._Z13wvSplitKQ_hf_I6__halfN3c1015Float8_e4m3fnuzELi64ELi7ELi16ELi16ELi1ELi3EEviiiPKT0_S5_PT_PKfS9_ii,"axG",@progbits,_Z13wvSplitKQ_hf_I6__halfN3c1015Float8_e4m3fnuzELi64ELi7ELi16ELi16ELi1ELi3EEviiiPKT0_S5_PT_PKfS9_ii,comdat
.Lfunc_end47:
	.size	_Z13wvSplitKQ_hf_I6__halfN3c1015Float8_e4m3fnuzELi64ELi7ELi16ELi16ELi1ELi3EEviiiPKT0_S5_PT_PKfS9_ii, .Lfunc_end47-_Z13wvSplitKQ_hf_I6__halfN3c1015Float8_e4m3fnuzELi64ELi7ELi16ELi16ELi1ELi3EEviiiPKT0_S5_PT_PKfS9_ii
                                        ; -- End function
	.set _Z13wvSplitKQ_hf_I6__halfN3c1015Float8_e4m3fnuzELi64ELi7ELi16ELi16ELi1ELi3EEviiiPKT0_S5_PT_PKfS9_ii.num_vgpr, max(3, .L__assert_fail.num_vgpr)
	.set _Z13wvSplitKQ_hf_I6__halfN3c1015Float8_e4m3fnuzELi64ELi7ELi16ELi16ELi1ELi3EEviiiPKT0_S5_PT_PKfS9_ii.num_agpr, max(0, .L__assert_fail.num_agpr)
	.set _Z13wvSplitKQ_hf_I6__halfN3c1015Float8_e4m3fnuzELi64ELi7ELi16ELi16ELi1ELi3EEviiiPKT0_S5_PT_PKfS9_ii.numbered_sgpr, max(33, .L__assert_fail.numbered_sgpr)
	.set _Z13wvSplitKQ_hf_I6__halfN3c1015Float8_e4m3fnuzELi64ELi7ELi16ELi16ELi1ELi3EEviiiPKT0_S5_PT_PKfS9_ii.num_named_barrier, max(0, .L__assert_fail.num_named_barrier)
	.set _Z13wvSplitKQ_hf_I6__halfN3c1015Float8_e4m3fnuzELi64ELi7ELi16ELi16ELi1ELi3EEviiiPKT0_S5_PT_PKfS9_ii.private_seg_size, 0+max(.L__assert_fail.private_seg_size)
	.set _Z13wvSplitKQ_hf_I6__halfN3c1015Float8_e4m3fnuzELi64ELi7ELi16ELi16ELi1ELi3EEviiiPKT0_S5_PT_PKfS9_ii.uses_vcc, or(1, .L__assert_fail.uses_vcc)
	.set _Z13wvSplitKQ_hf_I6__halfN3c1015Float8_e4m3fnuzELi64ELi7ELi16ELi16ELi1ELi3EEviiiPKT0_S5_PT_PKfS9_ii.uses_flat_scratch, or(0, .L__assert_fail.uses_flat_scratch)
	.set _Z13wvSplitKQ_hf_I6__halfN3c1015Float8_e4m3fnuzELi64ELi7ELi16ELi16ELi1ELi3EEviiiPKT0_S5_PT_PKfS9_ii.has_dyn_sized_stack, or(0, .L__assert_fail.has_dyn_sized_stack)
	.set _Z13wvSplitKQ_hf_I6__halfN3c1015Float8_e4m3fnuzELi64ELi7ELi16ELi16ELi1ELi3EEviiiPKT0_S5_PT_PKfS9_ii.has_recursion, or(0, .L__assert_fail.has_recursion)
	.set _Z13wvSplitKQ_hf_I6__halfN3c1015Float8_e4m3fnuzELi64ELi7ELi16ELi16ELi1ELi3EEviiiPKT0_S5_PT_PKfS9_ii.has_indirect_call, or(0, .L__assert_fail.has_indirect_call)
	.section	.AMDGPU.csdata,"",@progbits
; Kernel info:
; codeLenInByte = 64
; TotalNumSgprs: 36
; NumVgprs: 51
; ScratchSize: 64
; MemoryBound: 0
; FloatMode: 240
; IeeeMode: 1
; LDSByteSize: 0 bytes/workgroup (compile time only)
; SGPRBlocks: 0
; VGPRBlocks: 3
; NumSGPRsForWavesPerEU: 36
; NumVGPRsForWavesPerEU: 51
; NamedBarCnt: 0
; Occupancy: 16
; WaveLimiterHint : 1
; COMPUTE_PGM_RSRC2:SCRATCH_EN: 1
; COMPUTE_PGM_RSRC2:USER_SGPR: 2
; COMPUTE_PGM_RSRC2:TRAP_HANDLER: 0
; COMPUTE_PGM_RSRC2:TGID_X_EN: 1
; COMPUTE_PGM_RSRC2:TGID_Y_EN: 0
; COMPUTE_PGM_RSRC2:TGID_Z_EN: 0
; COMPUTE_PGM_RSRC2:TIDIG_COMP_CNT: 0
	.section	.text._Z17wvSplitKQ_hf_sml_I6__halfN3c1015Float8_e4m3fnuzELi64ELi4ELi16ELi16ELi1ELi4EEviiiPKT0_S5_PT_PKfS9_ii,"axG",@progbits,_Z17wvSplitKQ_hf_sml_I6__halfN3c1015Float8_e4m3fnuzELi64ELi4ELi16ELi16ELi1ELi4EEviiiPKT0_S5_PT_PKfS9_ii,comdat
	.protected	_Z17wvSplitKQ_hf_sml_I6__halfN3c1015Float8_e4m3fnuzELi64ELi4ELi16ELi16ELi1ELi4EEviiiPKT0_S5_PT_PKfS9_ii ; -- Begin function _Z17wvSplitKQ_hf_sml_I6__halfN3c1015Float8_e4m3fnuzELi64ELi4ELi16ELi16ELi1ELi4EEviiiPKT0_S5_PT_PKfS9_ii
	.globl	_Z17wvSplitKQ_hf_sml_I6__halfN3c1015Float8_e4m3fnuzELi64ELi4ELi16ELi16ELi1ELi4EEviiiPKT0_S5_PT_PKfS9_ii
	.p2align	8
	.type	_Z17wvSplitKQ_hf_sml_I6__halfN3c1015Float8_e4m3fnuzELi64ELi4ELi16ELi16ELi1ELi4EEviiiPKT0_S5_PT_PKfS9_ii,@function
_Z17wvSplitKQ_hf_sml_I6__halfN3c1015Float8_e4m3fnuzELi64ELi4ELi16ELi16ELi1ELi4EEviiiPKT0_S5_PT_PKfS9_ii: ; @_Z17wvSplitKQ_hf_sml_I6__halfN3c1015Float8_e4m3fnuzELi64ELi4ELi16ELi16ELi1ELi4EEviiiPKT0_S5_PT_PKfS9_ii
; %bb.0:
	s_get_pc_i64 s[2:3]
	s_add_nc_u64 s[2:3], s[2:3], __PRETTY_FUNCTION__._Z17wvSplitKQ_hf_sml_I6__halfN3c1015Float8_e4m3fnuzELi64ELi4ELi16ELi16ELi1ELi4EEviiiPKT0_S5_PT_PKfS9_ii@rel64+4
	s_delay_alu instid0(SALU_CYCLE_1)
	v_dual_mov_b32 v0, 0x5c1 :: v_dual_mov_b32 v1, s2
	v_mov_b32_e32 v2, s3
	s_add_nc_u64 s[8:9], s[0:1], 64
	s_get_pc_i64 s[0:1]
	s_add_nc_u64 s[0:1], s[0:1], __assert_fail@rel64+4
	s_mov_b32 s32, 0
	s_swap_pc_i64 s[30:31], s[0:1]
	.section	.rodata,"a",@progbits
	.p2align	6, 0x0
	.amdhsa_kernel _Z17wvSplitKQ_hf_sml_I6__halfN3c1015Float8_e4m3fnuzELi64ELi4ELi16ELi16ELi1ELi4EEviiiPKT0_S5_PT_PKfS9_ii
		.amdhsa_group_segment_fixed_size 0
		.amdhsa_private_segment_fixed_size 64
		.amdhsa_kernarg_size 320
		.amdhsa_user_sgpr_count 2
		.amdhsa_user_sgpr_dispatch_ptr 0
		.amdhsa_user_sgpr_queue_ptr 0
		.amdhsa_user_sgpr_kernarg_segment_ptr 1
		.amdhsa_user_sgpr_dispatch_id 0
		.amdhsa_user_sgpr_kernarg_preload_length 0
		.amdhsa_user_sgpr_kernarg_preload_offset 0
		.amdhsa_user_sgpr_private_segment_size 0
		.amdhsa_wavefront_size32 1
		.amdhsa_uses_dynamic_stack 0
		.amdhsa_enable_private_segment 1
		.amdhsa_system_sgpr_workgroup_id_x 1
		.amdhsa_system_sgpr_workgroup_id_y 0
		.amdhsa_system_sgpr_workgroup_id_z 0
		.amdhsa_system_sgpr_workgroup_info 0
		.amdhsa_system_vgpr_workitem_id 0
		.amdhsa_next_free_vgpr 51
		.amdhsa_next_free_sgpr 34
		.amdhsa_named_barrier_count 0
		.amdhsa_reserve_vcc 1
		.amdhsa_float_round_mode_32 0
		.amdhsa_float_round_mode_16_64 0
		.amdhsa_float_denorm_mode_32 3
		.amdhsa_float_denorm_mode_16_64 3
		.amdhsa_fp16_overflow 0
		.amdhsa_memory_ordered 1
		.amdhsa_forward_progress 1
		.amdhsa_inst_pref_size 1
		.amdhsa_round_robin_scheduling 0
		.amdhsa_exception_fp_ieee_invalid_op 0
		.amdhsa_exception_fp_denorm_src 0
		.amdhsa_exception_fp_ieee_div_zero 0
		.amdhsa_exception_fp_ieee_overflow 0
		.amdhsa_exception_fp_ieee_underflow 0
		.amdhsa_exception_fp_ieee_inexact 0
		.amdhsa_exception_int_div_zero 0
	.end_amdhsa_kernel
	.section	.text._Z17wvSplitKQ_hf_sml_I6__halfN3c1015Float8_e4m3fnuzELi64ELi4ELi16ELi16ELi1ELi4EEviiiPKT0_S5_PT_PKfS9_ii,"axG",@progbits,_Z17wvSplitKQ_hf_sml_I6__halfN3c1015Float8_e4m3fnuzELi64ELi4ELi16ELi16ELi1ELi4EEviiiPKT0_S5_PT_PKfS9_ii,comdat
.Lfunc_end48:
	.size	_Z17wvSplitKQ_hf_sml_I6__halfN3c1015Float8_e4m3fnuzELi64ELi4ELi16ELi16ELi1ELi4EEviiiPKT0_S5_PT_PKfS9_ii, .Lfunc_end48-_Z17wvSplitKQ_hf_sml_I6__halfN3c1015Float8_e4m3fnuzELi64ELi4ELi16ELi16ELi1ELi4EEviiiPKT0_S5_PT_PKfS9_ii
                                        ; -- End function
	.set _Z17wvSplitKQ_hf_sml_I6__halfN3c1015Float8_e4m3fnuzELi64ELi4ELi16ELi16ELi1ELi4EEviiiPKT0_S5_PT_PKfS9_ii.num_vgpr, max(3, .L__assert_fail.num_vgpr)
	.set _Z17wvSplitKQ_hf_sml_I6__halfN3c1015Float8_e4m3fnuzELi64ELi4ELi16ELi16ELi1ELi4EEviiiPKT0_S5_PT_PKfS9_ii.num_agpr, max(0, .L__assert_fail.num_agpr)
	.set _Z17wvSplitKQ_hf_sml_I6__halfN3c1015Float8_e4m3fnuzELi64ELi4ELi16ELi16ELi1ELi4EEviiiPKT0_S5_PT_PKfS9_ii.numbered_sgpr, max(33, .L__assert_fail.numbered_sgpr)
	.set _Z17wvSplitKQ_hf_sml_I6__halfN3c1015Float8_e4m3fnuzELi64ELi4ELi16ELi16ELi1ELi4EEviiiPKT0_S5_PT_PKfS9_ii.num_named_barrier, max(0, .L__assert_fail.num_named_barrier)
	.set _Z17wvSplitKQ_hf_sml_I6__halfN3c1015Float8_e4m3fnuzELi64ELi4ELi16ELi16ELi1ELi4EEviiiPKT0_S5_PT_PKfS9_ii.private_seg_size, 0+max(.L__assert_fail.private_seg_size)
	.set _Z17wvSplitKQ_hf_sml_I6__halfN3c1015Float8_e4m3fnuzELi64ELi4ELi16ELi16ELi1ELi4EEviiiPKT0_S5_PT_PKfS9_ii.uses_vcc, or(1, .L__assert_fail.uses_vcc)
	.set _Z17wvSplitKQ_hf_sml_I6__halfN3c1015Float8_e4m3fnuzELi64ELi4ELi16ELi16ELi1ELi4EEviiiPKT0_S5_PT_PKfS9_ii.uses_flat_scratch, or(0, .L__assert_fail.uses_flat_scratch)
	.set _Z17wvSplitKQ_hf_sml_I6__halfN3c1015Float8_e4m3fnuzELi64ELi4ELi16ELi16ELi1ELi4EEviiiPKT0_S5_PT_PKfS9_ii.has_dyn_sized_stack, or(0, .L__assert_fail.has_dyn_sized_stack)
	.set _Z17wvSplitKQ_hf_sml_I6__halfN3c1015Float8_e4m3fnuzELi64ELi4ELi16ELi16ELi1ELi4EEviiiPKT0_S5_PT_PKfS9_ii.has_recursion, or(0, .L__assert_fail.has_recursion)
	.set _Z17wvSplitKQ_hf_sml_I6__halfN3c1015Float8_e4m3fnuzELi64ELi4ELi16ELi16ELi1ELi4EEviiiPKT0_S5_PT_PKfS9_ii.has_indirect_call, or(0, .L__assert_fail.has_indirect_call)
	.section	.AMDGPU.csdata,"",@progbits
; Kernel info:
; codeLenInByte = 64
; TotalNumSgprs: 36
; NumVgprs: 51
; ScratchSize: 64
; MemoryBound: 0
; FloatMode: 240
; IeeeMode: 1
; LDSByteSize: 0 bytes/workgroup (compile time only)
; SGPRBlocks: 0
; VGPRBlocks: 3
; NumSGPRsForWavesPerEU: 36
; NumVGPRsForWavesPerEU: 51
; NamedBarCnt: 0
; Occupancy: 16
; WaveLimiterHint : 1
; COMPUTE_PGM_RSRC2:SCRATCH_EN: 1
; COMPUTE_PGM_RSRC2:USER_SGPR: 2
; COMPUTE_PGM_RSRC2:TRAP_HANDLER: 0
; COMPUTE_PGM_RSRC2:TGID_X_EN: 1
; COMPUTE_PGM_RSRC2:TGID_Y_EN: 0
; COMPUTE_PGM_RSRC2:TGID_Z_EN: 0
; COMPUTE_PGM_RSRC2:TIDIG_COMP_CNT: 0
	.section	.text._Z13wvSplitKQ_hf_I6__halfN3c1015Float8_e4m3fnuzELi64ELi7ELi16ELi16ELi1ELi4EEviiiPKT0_S5_PT_PKfS9_ii,"axG",@progbits,_Z13wvSplitKQ_hf_I6__halfN3c1015Float8_e4m3fnuzELi64ELi7ELi16ELi16ELi1ELi4EEviiiPKT0_S5_PT_PKfS9_ii,comdat
	.protected	_Z13wvSplitKQ_hf_I6__halfN3c1015Float8_e4m3fnuzELi64ELi7ELi16ELi16ELi1ELi4EEviiiPKT0_S5_PT_PKfS9_ii ; -- Begin function _Z13wvSplitKQ_hf_I6__halfN3c1015Float8_e4m3fnuzELi64ELi7ELi16ELi16ELi1ELi4EEviiiPKT0_S5_PT_PKfS9_ii
	.globl	_Z13wvSplitKQ_hf_I6__halfN3c1015Float8_e4m3fnuzELi64ELi7ELi16ELi16ELi1ELi4EEviiiPKT0_S5_PT_PKfS9_ii
	.p2align	8
	.type	_Z13wvSplitKQ_hf_I6__halfN3c1015Float8_e4m3fnuzELi64ELi7ELi16ELi16ELi1ELi4EEviiiPKT0_S5_PT_PKfS9_ii,@function
_Z13wvSplitKQ_hf_I6__halfN3c1015Float8_e4m3fnuzELi64ELi7ELi16ELi16ELi1ELi4EEviiiPKT0_S5_PT_PKfS9_ii: ; @_Z13wvSplitKQ_hf_I6__halfN3c1015Float8_e4m3fnuzELi64ELi7ELi16ELi16ELi1ELi4EEviiiPKT0_S5_PT_PKfS9_ii
; %bb.0:
	s_get_pc_i64 s[2:3]
	s_add_nc_u64 s[2:3], s[2:3], __PRETTY_FUNCTION__._Z13wvSplitKQ_hf_I6__halfN3c1015Float8_e4m3fnuzELi64ELi7ELi16ELi16ELi1ELi4EEviiiPKT0_S5_PT_PKfS9_ii@rel64+4
	s_delay_alu instid0(SALU_CYCLE_1)
	v_dual_mov_b32 v0, 0x66e :: v_dual_mov_b32 v1, s2
	v_mov_b32_e32 v2, s3
	s_add_nc_u64 s[8:9], s[0:1], 64
	s_get_pc_i64 s[0:1]
	s_add_nc_u64 s[0:1], s[0:1], __assert_fail@rel64+4
	s_mov_b32 s32, 0
	s_swap_pc_i64 s[30:31], s[0:1]
	.section	.rodata,"a",@progbits
	.p2align	6, 0x0
	.amdhsa_kernel _Z13wvSplitKQ_hf_I6__halfN3c1015Float8_e4m3fnuzELi64ELi7ELi16ELi16ELi1ELi4EEviiiPKT0_S5_PT_PKfS9_ii
		.amdhsa_group_segment_fixed_size 0
		.amdhsa_private_segment_fixed_size 64
		.amdhsa_kernarg_size 320
		.amdhsa_user_sgpr_count 2
		.amdhsa_user_sgpr_dispatch_ptr 0
		.amdhsa_user_sgpr_queue_ptr 0
		.amdhsa_user_sgpr_kernarg_segment_ptr 1
		.amdhsa_user_sgpr_dispatch_id 0
		.amdhsa_user_sgpr_kernarg_preload_length 0
		.amdhsa_user_sgpr_kernarg_preload_offset 0
		.amdhsa_user_sgpr_private_segment_size 0
		.amdhsa_wavefront_size32 1
		.amdhsa_uses_dynamic_stack 0
		.amdhsa_enable_private_segment 1
		.amdhsa_system_sgpr_workgroup_id_x 1
		.amdhsa_system_sgpr_workgroup_id_y 0
		.amdhsa_system_sgpr_workgroup_id_z 0
		.amdhsa_system_sgpr_workgroup_info 0
		.amdhsa_system_vgpr_workitem_id 0
		.amdhsa_next_free_vgpr 51
		.amdhsa_next_free_sgpr 34
		.amdhsa_named_barrier_count 0
		.amdhsa_reserve_vcc 1
		.amdhsa_float_round_mode_32 0
		.amdhsa_float_round_mode_16_64 0
		.amdhsa_float_denorm_mode_32 3
		.amdhsa_float_denorm_mode_16_64 3
		.amdhsa_fp16_overflow 0
		.amdhsa_memory_ordered 1
		.amdhsa_forward_progress 1
		.amdhsa_inst_pref_size 1
		.amdhsa_round_robin_scheduling 0
		.amdhsa_exception_fp_ieee_invalid_op 0
		.amdhsa_exception_fp_denorm_src 0
		.amdhsa_exception_fp_ieee_div_zero 0
		.amdhsa_exception_fp_ieee_overflow 0
		.amdhsa_exception_fp_ieee_underflow 0
		.amdhsa_exception_fp_ieee_inexact 0
		.amdhsa_exception_int_div_zero 0
	.end_amdhsa_kernel
	.section	.text._Z13wvSplitKQ_hf_I6__halfN3c1015Float8_e4m3fnuzELi64ELi7ELi16ELi16ELi1ELi4EEviiiPKT0_S5_PT_PKfS9_ii,"axG",@progbits,_Z13wvSplitKQ_hf_I6__halfN3c1015Float8_e4m3fnuzELi64ELi7ELi16ELi16ELi1ELi4EEviiiPKT0_S5_PT_PKfS9_ii,comdat
.Lfunc_end49:
	.size	_Z13wvSplitKQ_hf_I6__halfN3c1015Float8_e4m3fnuzELi64ELi7ELi16ELi16ELi1ELi4EEviiiPKT0_S5_PT_PKfS9_ii, .Lfunc_end49-_Z13wvSplitKQ_hf_I6__halfN3c1015Float8_e4m3fnuzELi64ELi7ELi16ELi16ELi1ELi4EEviiiPKT0_S5_PT_PKfS9_ii
                                        ; -- End function
	.set _Z13wvSplitKQ_hf_I6__halfN3c1015Float8_e4m3fnuzELi64ELi7ELi16ELi16ELi1ELi4EEviiiPKT0_S5_PT_PKfS9_ii.num_vgpr, max(3, .L__assert_fail.num_vgpr)
	.set _Z13wvSplitKQ_hf_I6__halfN3c1015Float8_e4m3fnuzELi64ELi7ELi16ELi16ELi1ELi4EEviiiPKT0_S5_PT_PKfS9_ii.num_agpr, max(0, .L__assert_fail.num_agpr)
	.set _Z13wvSplitKQ_hf_I6__halfN3c1015Float8_e4m3fnuzELi64ELi7ELi16ELi16ELi1ELi4EEviiiPKT0_S5_PT_PKfS9_ii.numbered_sgpr, max(33, .L__assert_fail.numbered_sgpr)
	.set _Z13wvSplitKQ_hf_I6__halfN3c1015Float8_e4m3fnuzELi64ELi7ELi16ELi16ELi1ELi4EEviiiPKT0_S5_PT_PKfS9_ii.num_named_barrier, max(0, .L__assert_fail.num_named_barrier)
	.set _Z13wvSplitKQ_hf_I6__halfN3c1015Float8_e4m3fnuzELi64ELi7ELi16ELi16ELi1ELi4EEviiiPKT0_S5_PT_PKfS9_ii.private_seg_size, 0+max(.L__assert_fail.private_seg_size)
	.set _Z13wvSplitKQ_hf_I6__halfN3c1015Float8_e4m3fnuzELi64ELi7ELi16ELi16ELi1ELi4EEviiiPKT0_S5_PT_PKfS9_ii.uses_vcc, or(1, .L__assert_fail.uses_vcc)
	.set _Z13wvSplitKQ_hf_I6__halfN3c1015Float8_e4m3fnuzELi64ELi7ELi16ELi16ELi1ELi4EEviiiPKT0_S5_PT_PKfS9_ii.uses_flat_scratch, or(0, .L__assert_fail.uses_flat_scratch)
	.set _Z13wvSplitKQ_hf_I6__halfN3c1015Float8_e4m3fnuzELi64ELi7ELi16ELi16ELi1ELi4EEviiiPKT0_S5_PT_PKfS9_ii.has_dyn_sized_stack, or(0, .L__assert_fail.has_dyn_sized_stack)
	.set _Z13wvSplitKQ_hf_I6__halfN3c1015Float8_e4m3fnuzELi64ELi7ELi16ELi16ELi1ELi4EEviiiPKT0_S5_PT_PKfS9_ii.has_recursion, or(0, .L__assert_fail.has_recursion)
	.set _Z13wvSplitKQ_hf_I6__halfN3c1015Float8_e4m3fnuzELi64ELi7ELi16ELi16ELi1ELi4EEviiiPKT0_S5_PT_PKfS9_ii.has_indirect_call, or(0, .L__assert_fail.has_indirect_call)
	.section	.AMDGPU.csdata,"",@progbits
; Kernel info:
; codeLenInByte = 64
; TotalNumSgprs: 36
; NumVgprs: 51
; ScratchSize: 64
; MemoryBound: 0
; FloatMode: 240
; IeeeMode: 1
; LDSByteSize: 0 bytes/workgroup (compile time only)
; SGPRBlocks: 0
; VGPRBlocks: 3
; NumSGPRsForWavesPerEU: 36
; NumVGPRsForWavesPerEU: 51
; NamedBarCnt: 0
; Occupancy: 16
; WaveLimiterHint : 1
; COMPUTE_PGM_RSRC2:SCRATCH_EN: 1
; COMPUTE_PGM_RSRC2:USER_SGPR: 2
; COMPUTE_PGM_RSRC2:TRAP_HANDLER: 0
; COMPUTE_PGM_RSRC2:TGID_X_EN: 1
; COMPUTE_PGM_RSRC2:TGID_Y_EN: 0
; COMPUTE_PGM_RSRC2:TGID_Z_EN: 0
; COMPUTE_PGM_RSRC2:TIDIG_COMP_CNT: 0
	.section	.text._Z17wvSplitKQ_hf_sml_I14__hip_bfloat16N3c1013Float8_e4m3fnELi64ELi2ELi16ELi16ELi2ELi1EEviiiPKT0_S5_PT_PKfS9_ii,"axG",@progbits,_Z17wvSplitKQ_hf_sml_I14__hip_bfloat16N3c1013Float8_e4m3fnELi64ELi2ELi16ELi16ELi2ELi1EEviiiPKT0_S5_PT_PKfS9_ii,comdat
	.protected	_Z17wvSplitKQ_hf_sml_I14__hip_bfloat16N3c1013Float8_e4m3fnELi64ELi2ELi16ELi16ELi2ELi1EEviiiPKT0_S5_PT_PKfS9_ii ; -- Begin function _Z17wvSplitKQ_hf_sml_I14__hip_bfloat16N3c1013Float8_e4m3fnELi64ELi2ELi16ELi16ELi2ELi1EEviiiPKT0_S5_PT_PKfS9_ii
	.globl	_Z17wvSplitKQ_hf_sml_I14__hip_bfloat16N3c1013Float8_e4m3fnELi64ELi2ELi16ELi16ELi2ELi1EEviiiPKT0_S5_PT_PKfS9_ii
	.p2align	8
	.type	_Z17wvSplitKQ_hf_sml_I14__hip_bfloat16N3c1013Float8_e4m3fnELi64ELi2ELi16ELi16ELi2ELi1EEviiiPKT0_S5_PT_PKfS9_ii,@function
_Z17wvSplitKQ_hf_sml_I14__hip_bfloat16N3c1013Float8_e4m3fnELi64ELi2ELi16ELi16ELi2ELi1EEviiiPKT0_S5_PT_PKfS9_ii: ; @_Z17wvSplitKQ_hf_sml_I14__hip_bfloat16N3c1013Float8_e4m3fnELi64ELi2ELi16ELi16ELi2ELi1EEviiiPKT0_S5_PT_PKfS9_ii
; %bb.0:
	s_get_pc_i64 s[2:3]
	s_add_nc_u64 s[2:3], s[2:3], __PRETTY_FUNCTION__._Z17wvSplitKQ_hf_sml_I14__hip_bfloat16N3c1013Float8_e4m3fnELi64ELi2ELi16ELi16ELi2ELi1EEviiiPKT0_S5_PT_PKfS9_ii@rel64+4
	s_delay_alu instid0(SALU_CYCLE_1)
	v_dual_mov_b32 v0, 0x5c1 :: v_dual_mov_b32 v1, s2
	v_mov_b32_e32 v2, s3
	s_add_nc_u64 s[8:9], s[0:1], 64
	s_get_pc_i64 s[0:1]
	s_add_nc_u64 s[0:1], s[0:1], __assert_fail@rel64+4
	s_mov_b32 s32, 0
	s_swap_pc_i64 s[30:31], s[0:1]
	.section	.rodata,"a",@progbits
	.p2align	6, 0x0
	.amdhsa_kernel _Z17wvSplitKQ_hf_sml_I14__hip_bfloat16N3c1013Float8_e4m3fnELi64ELi2ELi16ELi16ELi2ELi1EEviiiPKT0_S5_PT_PKfS9_ii
		.amdhsa_group_segment_fixed_size 0
		.amdhsa_private_segment_fixed_size 64
		.amdhsa_kernarg_size 320
		.amdhsa_user_sgpr_count 2
		.amdhsa_user_sgpr_dispatch_ptr 0
		.amdhsa_user_sgpr_queue_ptr 0
		.amdhsa_user_sgpr_kernarg_segment_ptr 1
		.amdhsa_user_sgpr_dispatch_id 0
		.amdhsa_user_sgpr_kernarg_preload_length 0
		.amdhsa_user_sgpr_kernarg_preload_offset 0
		.amdhsa_user_sgpr_private_segment_size 0
		.amdhsa_wavefront_size32 1
		.amdhsa_uses_dynamic_stack 0
		.amdhsa_enable_private_segment 1
		.amdhsa_system_sgpr_workgroup_id_x 1
		.amdhsa_system_sgpr_workgroup_id_y 0
		.amdhsa_system_sgpr_workgroup_id_z 0
		.amdhsa_system_sgpr_workgroup_info 0
		.amdhsa_system_vgpr_workitem_id 0
		.amdhsa_next_free_vgpr 51
		.amdhsa_next_free_sgpr 34
		.amdhsa_named_barrier_count 0
		.amdhsa_reserve_vcc 1
		.amdhsa_float_round_mode_32 0
		.amdhsa_float_round_mode_16_64 0
		.amdhsa_float_denorm_mode_32 3
		.amdhsa_float_denorm_mode_16_64 3
		.amdhsa_fp16_overflow 0
		.amdhsa_memory_ordered 1
		.amdhsa_forward_progress 1
		.amdhsa_inst_pref_size 1
		.amdhsa_round_robin_scheduling 0
		.amdhsa_exception_fp_ieee_invalid_op 0
		.amdhsa_exception_fp_denorm_src 0
		.amdhsa_exception_fp_ieee_div_zero 0
		.amdhsa_exception_fp_ieee_overflow 0
		.amdhsa_exception_fp_ieee_underflow 0
		.amdhsa_exception_fp_ieee_inexact 0
		.amdhsa_exception_int_div_zero 0
	.end_amdhsa_kernel
	.section	.text._Z17wvSplitKQ_hf_sml_I14__hip_bfloat16N3c1013Float8_e4m3fnELi64ELi2ELi16ELi16ELi2ELi1EEviiiPKT0_S5_PT_PKfS9_ii,"axG",@progbits,_Z17wvSplitKQ_hf_sml_I14__hip_bfloat16N3c1013Float8_e4m3fnELi64ELi2ELi16ELi16ELi2ELi1EEviiiPKT0_S5_PT_PKfS9_ii,comdat
.Lfunc_end50:
	.size	_Z17wvSplitKQ_hf_sml_I14__hip_bfloat16N3c1013Float8_e4m3fnELi64ELi2ELi16ELi16ELi2ELi1EEviiiPKT0_S5_PT_PKfS9_ii, .Lfunc_end50-_Z17wvSplitKQ_hf_sml_I14__hip_bfloat16N3c1013Float8_e4m3fnELi64ELi2ELi16ELi16ELi2ELi1EEviiiPKT0_S5_PT_PKfS9_ii
                                        ; -- End function
	.set _Z17wvSplitKQ_hf_sml_I14__hip_bfloat16N3c1013Float8_e4m3fnELi64ELi2ELi16ELi16ELi2ELi1EEviiiPKT0_S5_PT_PKfS9_ii.num_vgpr, max(3, .L__assert_fail.num_vgpr)
	.set _Z17wvSplitKQ_hf_sml_I14__hip_bfloat16N3c1013Float8_e4m3fnELi64ELi2ELi16ELi16ELi2ELi1EEviiiPKT0_S5_PT_PKfS9_ii.num_agpr, max(0, .L__assert_fail.num_agpr)
	.set _Z17wvSplitKQ_hf_sml_I14__hip_bfloat16N3c1013Float8_e4m3fnELi64ELi2ELi16ELi16ELi2ELi1EEviiiPKT0_S5_PT_PKfS9_ii.numbered_sgpr, max(33, .L__assert_fail.numbered_sgpr)
	.set _Z17wvSplitKQ_hf_sml_I14__hip_bfloat16N3c1013Float8_e4m3fnELi64ELi2ELi16ELi16ELi2ELi1EEviiiPKT0_S5_PT_PKfS9_ii.num_named_barrier, max(0, .L__assert_fail.num_named_barrier)
	.set _Z17wvSplitKQ_hf_sml_I14__hip_bfloat16N3c1013Float8_e4m3fnELi64ELi2ELi16ELi16ELi2ELi1EEviiiPKT0_S5_PT_PKfS9_ii.private_seg_size, 0+max(.L__assert_fail.private_seg_size)
	.set _Z17wvSplitKQ_hf_sml_I14__hip_bfloat16N3c1013Float8_e4m3fnELi64ELi2ELi16ELi16ELi2ELi1EEviiiPKT0_S5_PT_PKfS9_ii.uses_vcc, or(1, .L__assert_fail.uses_vcc)
	.set _Z17wvSplitKQ_hf_sml_I14__hip_bfloat16N3c1013Float8_e4m3fnELi64ELi2ELi16ELi16ELi2ELi1EEviiiPKT0_S5_PT_PKfS9_ii.uses_flat_scratch, or(0, .L__assert_fail.uses_flat_scratch)
	.set _Z17wvSplitKQ_hf_sml_I14__hip_bfloat16N3c1013Float8_e4m3fnELi64ELi2ELi16ELi16ELi2ELi1EEviiiPKT0_S5_PT_PKfS9_ii.has_dyn_sized_stack, or(0, .L__assert_fail.has_dyn_sized_stack)
	.set _Z17wvSplitKQ_hf_sml_I14__hip_bfloat16N3c1013Float8_e4m3fnELi64ELi2ELi16ELi16ELi2ELi1EEviiiPKT0_S5_PT_PKfS9_ii.has_recursion, or(0, .L__assert_fail.has_recursion)
	.set _Z17wvSplitKQ_hf_sml_I14__hip_bfloat16N3c1013Float8_e4m3fnELi64ELi2ELi16ELi16ELi2ELi1EEviiiPKT0_S5_PT_PKfS9_ii.has_indirect_call, or(0, .L__assert_fail.has_indirect_call)
	.section	.AMDGPU.csdata,"",@progbits
; Kernel info:
; codeLenInByte = 64
; TotalNumSgprs: 36
; NumVgprs: 51
; ScratchSize: 64
; MemoryBound: 0
; FloatMode: 240
; IeeeMode: 1
; LDSByteSize: 0 bytes/workgroup (compile time only)
; SGPRBlocks: 0
; VGPRBlocks: 3
; NumSGPRsForWavesPerEU: 36
; NumVGPRsForWavesPerEU: 51
; NamedBarCnt: 0
; Occupancy: 16
; WaveLimiterHint : 1
; COMPUTE_PGM_RSRC2:SCRATCH_EN: 1
; COMPUTE_PGM_RSRC2:USER_SGPR: 2
; COMPUTE_PGM_RSRC2:TRAP_HANDLER: 0
; COMPUTE_PGM_RSRC2:TGID_X_EN: 1
; COMPUTE_PGM_RSRC2:TGID_Y_EN: 0
; COMPUTE_PGM_RSRC2:TGID_Z_EN: 0
; COMPUTE_PGM_RSRC2:TIDIG_COMP_CNT: 0
	.section	.text._Z13wvSplitKQ_hf_I14__hip_bfloat16N3c1013Float8_e4m3fnELi64ELi2ELi16ELi16ELi2ELi1EEviiiPKT0_S5_PT_PKfS9_ii,"axG",@progbits,_Z13wvSplitKQ_hf_I14__hip_bfloat16N3c1013Float8_e4m3fnELi64ELi2ELi16ELi16ELi2ELi1EEviiiPKT0_S5_PT_PKfS9_ii,comdat
	.protected	_Z13wvSplitKQ_hf_I14__hip_bfloat16N3c1013Float8_e4m3fnELi64ELi2ELi16ELi16ELi2ELi1EEviiiPKT0_S5_PT_PKfS9_ii ; -- Begin function _Z13wvSplitKQ_hf_I14__hip_bfloat16N3c1013Float8_e4m3fnELi64ELi2ELi16ELi16ELi2ELi1EEviiiPKT0_S5_PT_PKfS9_ii
	.globl	_Z13wvSplitKQ_hf_I14__hip_bfloat16N3c1013Float8_e4m3fnELi64ELi2ELi16ELi16ELi2ELi1EEviiiPKT0_S5_PT_PKfS9_ii
	.p2align	8
	.type	_Z13wvSplitKQ_hf_I14__hip_bfloat16N3c1013Float8_e4m3fnELi64ELi2ELi16ELi16ELi2ELi1EEviiiPKT0_S5_PT_PKfS9_ii,@function
_Z13wvSplitKQ_hf_I14__hip_bfloat16N3c1013Float8_e4m3fnELi64ELi2ELi16ELi16ELi2ELi1EEviiiPKT0_S5_PT_PKfS9_ii: ; @_Z13wvSplitKQ_hf_I14__hip_bfloat16N3c1013Float8_e4m3fnELi64ELi2ELi16ELi16ELi2ELi1EEviiiPKT0_S5_PT_PKfS9_ii
; %bb.0:
	s_get_pc_i64 s[2:3]
	s_add_nc_u64 s[2:3], s[2:3], __PRETTY_FUNCTION__._Z13wvSplitKQ_hf_I14__hip_bfloat16N3c1013Float8_e4m3fnELi64ELi2ELi16ELi16ELi2ELi1EEviiiPKT0_S5_PT_PKfS9_ii@rel64+4
	s_delay_alu instid0(SALU_CYCLE_1)
	v_dual_mov_b32 v0, 0x66e :: v_dual_mov_b32 v1, s2
	v_mov_b32_e32 v2, s3
	s_add_nc_u64 s[8:9], s[0:1], 64
	s_get_pc_i64 s[0:1]
	s_add_nc_u64 s[0:1], s[0:1], __assert_fail@rel64+4
	s_mov_b32 s32, 0
	s_swap_pc_i64 s[30:31], s[0:1]
	.section	.rodata,"a",@progbits
	.p2align	6, 0x0
	.amdhsa_kernel _Z13wvSplitKQ_hf_I14__hip_bfloat16N3c1013Float8_e4m3fnELi64ELi2ELi16ELi16ELi2ELi1EEviiiPKT0_S5_PT_PKfS9_ii
		.amdhsa_group_segment_fixed_size 0
		.amdhsa_private_segment_fixed_size 64
		.amdhsa_kernarg_size 320
		.amdhsa_user_sgpr_count 2
		.amdhsa_user_sgpr_dispatch_ptr 0
		.amdhsa_user_sgpr_queue_ptr 0
		.amdhsa_user_sgpr_kernarg_segment_ptr 1
		.amdhsa_user_sgpr_dispatch_id 0
		.amdhsa_user_sgpr_kernarg_preload_length 0
		.amdhsa_user_sgpr_kernarg_preload_offset 0
		.amdhsa_user_sgpr_private_segment_size 0
		.amdhsa_wavefront_size32 1
		.amdhsa_uses_dynamic_stack 0
		.amdhsa_enable_private_segment 1
		.amdhsa_system_sgpr_workgroup_id_x 1
		.amdhsa_system_sgpr_workgroup_id_y 0
		.amdhsa_system_sgpr_workgroup_id_z 0
		.amdhsa_system_sgpr_workgroup_info 0
		.amdhsa_system_vgpr_workitem_id 0
		.amdhsa_next_free_vgpr 51
		.amdhsa_next_free_sgpr 34
		.amdhsa_named_barrier_count 0
		.amdhsa_reserve_vcc 1
		.amdhsa_float_round_mode_32 0
		.amdhsa_float_round_mode_16_64 0
		.amdhsa_float_denorm_mode_32 3
		.amdhsa_float_denorm_mode_16_64 3
		.amdhsa_fp16_overflow 0
		.amdhsa_memory_ordered 1
		.amdhsa_forward_progress 1
		.amdhsa_inst_pref_size 1
		.amdhsa_round_robin_scheduling 0
		.amdhsa_exception_fp_ieee_invalid_op 0
		.amdhsa_exception_fp_denorm_src 0
		.amdhsa_exception_fp_ieee_div_zero 0
		.amdhsa_exception_fp_ieee_overflow 0
		.amdhsa_exception_fp_ieee_underflow 0
		.amdhsa_exception_fp_ieee_inexact 0
		.amdhsa_exception_int_div_zero 0
	.end_amdhsa_kernel
	.section	.text._Z13wvSplitKQ_hf_I14__hip_bfloat16N3c1013Float8_e4m3fnELi64ELi2ELi16ELi16ELi2ELi1EEviiiPKT0_S5_PT_PKfS9_ii,"axG",@progbits,_Z13wvSplitKQ_hf_I14__hip_bfloat16N3c1013Float8_e4m3fnELi64ELi2ELi16ELi16ELi2ELi1EEviiiPKT0_S5_PT_PKfS9_ii,comdat
.Lfunc_end51:
	.size	_Z13wvSplitKQ_hf_I14__hip_bfloat16N3c1013Float8_e4m3fnELi64ELi2ELi16ELi16ELi2ELi1EEviiiPKT0_S5_PT_PKfS9_ii, .Lfunc_end51-_Z13wvSplitKQ_hf_I14__hip_bfloat16N3c1013Float8_e4m3fnELi64ELi2ELi16ELi16ELi2ELi1EEviiiPKT0_S5_PT_PKfS9_ii
                                        ; -- End function
	.set _Z13wvSplitKQ_hf_I14__hip_bfloat16N3c1013Float8_e4m3fnELi64ELi2ELi16ELi16ELi2ELi1EEviiiPKT0_S5_PT_PKfS9_ii.num_vgpr, max(3, .L__assert_fail.num_vgpr)
	.set _Z13wvSplitKQ_hf_I14__hip_bfloat16N3c1013Float8_e4m3fnELi64ELi2ELi16ELi16ELi2ELi1EEviiiPKT0_S5_PT_PKfS9_ii.num_agpr, max(0, .L__assert_fail.num_agpr)
	.set _Z13wvSplitKQ_hf_I14__hip_bfloat16N3c1013Float8_e4m3fnELi64ELi2ELi16ELi16ELi2ELi1EEviiiPKT0_S5_PT_PKfS9_ii.numbered_sgpr, max(33, .L__assert_fail.numbered_sgpr)
	.set _Z13wvSplitKQ_hf_I14__hip_bfloat16N3c1013Float8_e4m3fnELi64ELi2ELi16ELi16ELi2ELi1EEviiiPKT0_S5_PT_PKfS9_ii.num_named_barrier, max(0, .L__assert_fail.num_named_barrier)
	.set _Z13wvSplitKQ_hf_I14__hip_bfloat16N3c1013Float8_e4m3fnELi64ELi2ELi16ELi16ELi2ELi1EEviiiPKT0_S5_PT_PKfS9_ii.private_seg_size, 0+max(.L__assert_fail.private_seg_size)
	.set _Z13wvSplitKQ_hf_I14__hip_bfloat16N3c1013Float8_e4m3fnELi64ELi2ELi16ELi16ELi2ELi1EEviiiPKT0_S5_PT_PKfS9_ii.uses_vcc, or(1, .L__assert_fail.uses_vcc)
	.set _Z13wvSplitKQ_hf_I14__hip_bfloat16N3c1013Float8_e4m3fnELi64ELi2ELi16ELi16ELi2ELi1EEviiiPKT0_S5_PT_PKfS9_ii.uses_flat_scratch, or(0, .L__assert_fail.uses_flat_scratch)
	.set _Z13wvSplitKQ_hf_I14__hip_bfloat16N3c1013Float8_e4m3fnELi64ELi2ELi16ELi16ELi2ELi1EEviiiPKT0_S5_PT_PKfS9_ii.has_dyn_sized_stack, or(0, .L__assert_fail.has_dyn_sized_stack)
	.set _Z13wvSplitKQ_hf_I14__hip_bfloat16N3c1013Float8_e4m3fnELi64ELi2ELi16ELi16ELi2ELi1EEviiiPKT0_S5_PT_PKfS9_ii.has_recursion, or(0, .L__assert_fail.has_recursion)
	.set _Z13wvSplitKQ_hf_I14__hip_bfloat16N3c1013Float8_e4m3fnELi64ELi2ELi16ELi16ELi2ELi1EEviiiPKT0_S5_PT_PKfS9_ii.has_indirect_call, or(0, .L__assert_fail.has_indirect_call)
	.section	.AMDGPU.csdata,"",@progbits
; Kernel info:
; codeLenInByte = 64
; TotalNumSgprs: 36
; NumVgprs: 51
; ScratchSize: 64
; MemoryBound: 0
; FloatMode: 240
; IeeeMode: 1
; LDSByteSize: 0 bytes/workgroup (compile time only)
; SGPRBlocks: 0
; VGPRBlocks: 3
; NumSGPRsForWavesPerEU: 36
; NumVGPRsForWavesPerEU: 51
; NamedBarCnt: 0
; Occupancy: 16
; WaveLimiterHint : 1
; COMPUTE_PGM_RSRC2:SCRATCH_EN: 1
; COMPUTE_PGM_RSRC2:USER_SGPR: 2
; COMPUTE_PGM_RSRC2:TRAP_HANDLER: 0
; COMPUTE_PGM_RSRC2:TGID_X_EN: 1
; COMPUTE_PGM_RSRC2:TGID_Y_EN: 0
; COMPUTE_PGM_RSRC2:TGID_Z_EN: 0
; COMPUTE_PGM_RSRC2:TIDIG_COMP_CNT: 0
	.section	.text._Z17wvSplitKQ_hf_sml_I14__hip_bfloat16N3c1013Float8_e4m3fnELi64ELi2ELi16ELi16ELi2ELi2EEviiiPKT0_S5_PT_PKfS9_ii,"axG",@progbits,_Z17wvSplitKQ_hf_sml_I14__hip_bfloat16N3c1013Float8_e4m3fnELi64ELi2ELi16ELi16ELi2ELi2EEviiiPKT0_S5_PT_PKfS9_ii,comdat
	.protected	_Z17wvSplitKQ_hf_sml_I14__hip_bfloat16N3c1013Float8_e4m3fnELi64ELi2ELi16ELi16ELi2ELi2EEviiiPKT0_S5_PT_PKfS9_ii ; -- Begin function _Z17wvSplitKQ_hf_sml_I14__hip_bfloat16N3c1013Float8_e4m3fnELi64ELi2ELi16ELi16ELi2ELi2EEviiiPKT0_S5_PT_PKfS9_ii
	.globl	_Z17wvSplitKQ_hf_sml_I14__hip_bfloat16N3c1013Float8_e4m3fnELi64ELi2ELi16ELi16ELi2ELi2EEviiiPKT0_S5_PT_PKfS9_ii
	.p2align	8
	.type	_Z17wvSplitKQ_hf_sml_I14__hip_bfloat16N3c1013Float8_e4m3fnELi64ELi2ELi16ELi16ELi2ELi2EEviiiPKT0_S5_PT_PKfS9_ii,@function
_Z17wvSplitKQ_hf_sml_I14__hip_bfloat16N3c1013Float8_e4m3fnELi64ELi2ELi16ELi16ELi2ELi2EEviiiPKT0_S5_PT_PKfS9_ii: ; @_Z17wvSplitKQ_hf_sml_I14__hip_bfloat16N3c1013Float8_e4m3fnELi64ELi2ELi16ELi16ELi2ELi2EEviiiPKT0_S5_PT_PKfS9_ii
; %bb.0:
	s_get_pc_i64 s[2:3]
	s_add_nc_u64 s[2:3], s[2:3], __PRETTY_FUNCTION__._Z17wvSplitKQ_hf_sml_I14__hip_bfloat16N3c1013Float8_e4m3fnELi64ELi2ELi16ELi16ELi2ELi2EEviiiPKT0_S5_PT_PKfS9_ii@rel64+4
	s_delay_alu instid0(SALU_CYCLE_1)
	v_dual_mov_b32 v0, 0x5c1 :: v_dual_mov_b32 v1, s2
	v_mov_b32_e32 v2, s3
	s_add_nc_u64 s[8:9], s[0:1], 64
	s_get_pc_i64 s[0:1]
	s_add_nc_u64 s[0:1], s[0:1], __assert_fail@rel64+4
	s_mov_b32 s32, 0
	s_swap_pc_i64 s[30:31], s[0:1]
	.section	.rodata,"a",@progbits
	.p2align	6, 0x0
	.amdhsa_kernel _Z17wvSplitKQ_hf_sml_I14__hip_bfloat16N3c1013Float8_e4m3fnELi64ELi2ELi16ELi16ELi2ELi2EEviiiPKT0_S5_PT_PKfS9_ii
		.amdhsa_group_segment_fixed_size 0
		.amdhsa_private_segment_fixed_size 64
		.amdhsa_kernarg_size 320
		.amdhsa_user_sgpr_count 2
		.amdhsa_user_sgpr_dispatch_ptr 0
		.amdhsa_user_sgpr_queue_ptr 0
		.amdhsa_user_sgpr_kernarg_segment_ptr 1
		.amdhsa_user_sgpr_dispatch_id 0
		.amdhsa_user_sgpr_kernarg_preload_length 0
		.amdhsa_user_sgpr_kernarg_preload_offset 0
		.amdhsa_user_sgpr_private_segment_size 0
		.amdhsa_wavefront_size32 1
		.amdhsa_uses_dynamic_stack 0
		.amdhsa_enable_private_segment 1
		.amdhsa_system_sgpr_workgroup_id_x 1
		.amdhsa_system_sgpr_workgroup_id_y 0
		.amdhsa_system_sgpr_workgroup_id_z 0
		.amdhsa_system_sgpr_workgroup_info 0
		.amdhsa_system_vgpr_workitem_id 0
		.amdhsa_next_free_vgpr 51
		.amdhsa_next_free_sgpr 34
		.amdhsa_named_barrier_count 0
		.amdhsa_reserve_vcc 1
		.amdhsa_float_round_mode_32 0
		.amdhsa_float_round_mode_16_64 0
		.amdhsa_float_denorm_mode_32 3
		.amdhsa_float_denorm_mode_16_64 3
		.amdhsa_fp16_overflow 0
		.amdhsa_memory_ordered 1
		.amdhsa_forward_progress 1
		.amdhsa_inst_pref_size 1
		.amdhsa_round_robin_scheduling 0
		.amdhsa_exception_fp_ieee_invalid_op 0
		.amdhsa_exception_fp_denorm_src 0
		.amdhsa_exception_fp_ieee_div_zero 0
		.amdhsa_exception_fp_ieee_overflow 0
		.amdhsa_exception_fp_ieee_underflow 0
		.amdhsa_exception_fp_ieee_inexact 0
		.amdhsa_exception_int_div_zero 0
	.end_amdhsa_kernel
	.section	.text._Z17wvSplitKQ_hf_sml_I14__hip_bfloat16N3c1013Float8_e4m3fnELi64ELi2ELi16ELi16ELi2ELi2EEviiiPKT0_S5_PT_PKfS9_ii,"axG",@progbits,_Z17wvSplitKQ_hf_sml_I14__hip_bfloat16N3c1013Float8_e4m3fnELi64ELi2ELi16ELi16ELi2ELi2EEviiiPKT0_S5_PT_PKfS9_ii,comdat
.Lfunc_end52:
	.size	_Z17wvSplitKQ_hf_sml_I14__hip_bfloat16N3c1013Float8_e4m3fnELi64ELi2ELi16ELi16ELi2ELi2EEviiiPKT0_S5_PT_PKfS9_ii, .Lfunc_end52-_Z17wvSplitKQ_hf_sml_I14__hip_bfloat16N3c1013Float8_e4m3fnELi64ELi2ELi16ELi16ELi2ELi2EEviiiPKT0_S5_PT_PKfS9_ii
                                        ; -- End function
	.set _Z17wvSplitKQ_hf_sml_I14__hip_bfloat16N3c1013Float8_e4m3fnELi64ELi2ELi16ELi16ELi2ELi2EEviiiPKT0_S5_PT_PKfS9_ii.num_vgpr, max(3, .L__assert_fail.num_vgpr)
	.set _Z17wvSplitKQ_hf_sml_I14__hip_bfloat16N3c1013Float8_e4m3fnELi64ELi2ELi16ELi16ELi2ELi2EEviiiPKT0_S5_PT_PKfS9_ii.num_agpr, max(0, .L__assert_fail.num_agpr)
	.set _Z17wvSplitKQ_hf_sml_I14__hip_bfloat16N3c1013Float8_e4m3fnELi64ELi2ELi16ELi16ELi2ELi2EEviiiPKT0_S5_PT_PKfS9_ii.numbered_sgpr, max(33, .L__assert_fail.numbered_sgpr)
	.set _Z17wvSplitKQ_hf_sml_I14__hip_bfloat16N3c1013Float8_e4m3fnELi64ELi2ELi16ELi16ELi2ELi2EEviiiPKT0_S5_PT_PKfS9_ii.num_named_barrier, max(0, .L__assert_fail.num_named_barrier)
	.set _Z17wvSplitKQ_hf_sml_I14__hip_bfloat16N3c1013Float8_e4m3fnELi64ELi2ELi16ELi16ELi2ELi2EEviiiPKT0_S5_PT_PKfS9_ii.private_seg_size, 0+max(.L__assert_fail.private_seg_size)
	.set _Z17wvSplitKQ_hf_sml_I14__hip_bfloat16N3c1013Float8_e4m3fnELi64ELi2ELi16ELi16ELi2ELi2EEviiiPKT0_S5_PT_PKfS9_ii.uses_vcc, or(1, .L__assert_fail.uses_vcc)
	.set _Z17wvSplitKQ_hf_sml_I14__hip_bfloat16N3c1013Float8_e4m3fnELi64ELi2ELi16ELi16ELi2ELi2EEviiiPKT0_S5_PT_PKfS9_ii.uses_flat_scratch, or(0, .L__assert_fail.uses_flat_scratch)
	.set _Z17wvSplitKQ_hf_sml_I14__hip_bfloat16N3c1013Float8_e4m3fnELi64ELi2ELi16ELi16ELi2ELi2EEviiiPKT0_S5_PT_PKfS9_ii.has_dyn_sized_stack, or(0, .L__assert_fail.has_dyn_sized_stack)
	.set _Z17wvSplitKQ_hf_sml_I14__hip_bfloat16N3c1013Float8_e4m3fnELi64ELi2ELi16ELi16ELi2ELi2EEviiiPKT0_S5_PT_PKfS9_ii.has_recursion, or(0, .L__assert_fail.has_recursion)
	.set _Z17wvSplitKQ_hf_sml_I14__hip_bfloat16N3c1013Float8_e4m3fnELi64ELi2ELi16ELi16ELi2ELi2EEviiiPKT0_S5_PT_PKfS9_ii.has_indirect_call, or(0, .L__assert_fail.has_indirect_call)
	.section	.AMDGPU.csdata,"",@progbits
; Kernel info:
; codeLenInByte = 64
; TotalNumSgprs: 36
; NumVgprs: 51
; ScratchSize: 64
; MemoryBound: 0
; FloatMode: 240
; IeeeMode: 1
; LDSByteSize: 0 bytes/workgroup (compile time only)
; SGPRBlocks: 0
; VGPRBlocks: 3
; NumSGPRsForWavesPerEU: 36
; NumVGPRsForWavesPerEU: 51
; NamedBarCnt: 0
; Occupancy: 16
; WaveLimiterHint : 1
; COMPUTE_PGM_RSRC2:SCRATCH_EN: 1
; COMPUTE_PGM_RSRC2:USER_SGPR: 2
; COMPUTE_PGM_RSRC2:TRAP_HANDLER: 0
; COMPUTE_PGM_RSRC2:TGID_X_EN: 1
; COMPUTE_PGM_RSRC2:TGID_Y_EN: 0
; COMPUTE_PGM_RSRC2:TGID_Z_EN: 0
; COMPUTE_PGM_RSRC2:TIDIG_COMP_CNT: 0
	.section	.text._Z13wvSplitKQ_hf_I14__hip_bfloat16N3c1013Float8_e4m3fnELi64ELi2ELi16ELi16ELi2ELi2EEviiiPKT0_S5_PT_PKfS9_ii,"axG",@progbits,_Z13wvSplitKQ_hf_I14__hip_bfloat16N3c1013Float8_e4m3fnELi64ELi2ELi16ELi16ELi2ELi2EEviiiPKT0_S5_PT_PKfS9_ii,comdat
	.protected	_Z13wvSplitKQ_hf_I14__hip_bfloat16N3c1013Float8_e4m3fnELi64ELi2ELi16ELi16ELi2ELi2EEviiiPKT0_S5_PT_PKfS9_ii ; -- Begin function _Z13wvSplitKQ_hf_I14__hip_bfloat16N3c1013Float8_e4m3fnELi64ELi2ELi16ELi16ELi2ELi2EEviiiPKT0_S5_PT_PKfS9_ii
	.globl	_Z13wvSplitKQ_hf_I14__hip_bfloat16N3c1013Float8_e4m3fnELi64ELi2ELi16ELi16ELi2ELi2EEviiiPKT0_S5_PT_PKfS9_ii
	.p2align	8
	.type	_Z13wvSplitKQ_hf_I14__hip_bfloat16N3c1013Float8_e4m3fnELi64ELi2ELi16ELi16ELi2ELi2EEviiiPKT0_S5_PT_PKfS9_ii,@function
_Z13wvSplitKQ_hf_I14__hip_bfloat16N3c1013Float8_e4m3fnELi64ELi2ELi16ELi16ELi2ELi2EEviiiPKT0_S5_PT_PKfS9_ii: ; @_Z13wvSplitKQ_hf_I14__hip_bfloat16N3c1013Float8_e4m3fnELi64ELi2ELi16ELi16ELi2ELi2EEviiiPKT0_S5_PT_PKfS9_ii
; %bb.0:
	s_get_pc_i64 s[2:3]
	s_add_nc_u64 s[2:3], s[2:3], __PRETTY_FUNCTION__._Z13wvSplitKQ_hf_I14__hip_bfloat16N3c1013Float8_e4m3fnELi64ELi2ELi16ELi16ELi2ELi2EEviiiPKT0_S5_PT_PKfS9_ii@rel64+4
	s_delay_alu instid0(SALU_CYCLE_1)
	v_dual_mov_b32 v0, 0x66e :: v_dual_mov_b32 v1, s2
	v_mov_b32_e32 v2, s3
	s_add_nc_u64 s[8:9], s[0:1], 64
	s_get_pc_i64 s[0:1]
	s_add_nc_u64 s[0:1], s[0:1], __assert_fail@rel64+4
	s_mov_b32 s32, 0
	s_swap_pc_i64 s[30:31], s[0:1]
	.section	.rodata,"a",@progbits
	.p2align	6, 0x0
	.amdhsa_kernel _Z13wvSplitKQ_hf_I14__hip_bfloat16N3c1013Float8_e4m3fnELi64ELi2ELi16ELi16ELi2ELi2EEviiiPKT0_S5_PT_PKfS9_ii
		.amdhsa_group_segment_fixed_size 0
		.amdhsa_private_segment_fixed_size 64
		.amdhsa_kernarg_size 320
		.amdhsa_user_sgpr_count 2
		.amdhsa_user_sgpr_dispatch_ptr 0
		.amdhsa_user_sgpr_queue_ptr 0
		.amdhsa_user_sgpr_kernarg_segment_ptr 1
		.amdhsa_user_sgpr_dispatch_id 0
		.amdhsa_user_sgpr_kernarg_preload_length 0
		.amdhsa_user_sgpr_kernarg_preload_offset 0
		.amdhsa_user_sgpr_private_segment_size 0
		.amdhsa_wavefront_size32 1
		.amdhsa_uses_dynamic_stack 0
		.amdhsa_enable_private_segment 1
		.amdhsa_system_sgpr_workgroup_id_x 1
		.amdhsa_system_sgpr_workgroup_id_y 0
		.amdhsa_system_sgpr_workgroup_id_z 0
		.amdhsa_system_sgpr_workgroup_info 0
		.amdhsa_system_vgpr_workitem_id 0
		.amdhsa_next_free_vgpr 51
		.amdhsa_next_free_sgpr 34
		.amdhsa_named_barrier_count 0
		.amdhsa_reserve_vcc 1
		.amdhsa_float_round_mode_32 0
		.amdhsa_float_round_mode_16_64 0
		.amdhsa_float_denorm_mode_32 3
		.amdhsa_float_denorm_mode_16_64 3
		.amdhsa_fp16_overflow 0
		.amdhsa_memory_ordered 1
		.amdhsa_forward_progress 1
		.amdhsa_inst_pref_size 1
		.amdhsa_round_robin_scheduling 0
		.amdhsa_exception_fp_ieee_invalid_op 0
		.amdhsa_exception_fp_denorm_src 0
		.amdhsa_exception_fp_ieee_div_zero 0
		.amdhsa_exception_fp_ieee_overflow 0
		.amdhsa_exception_fp_ieee_underflow 0
		.amdhsa_exception_fp_ieee_inexact 0
		.amdhsa_exception_int_div_zero 0
	.end_amdhsa_kernel
	.section	.text._Z13wvSplitKQ_hf_I14__hip_bfloat16N3c1013Float8_e4m3fnELi64ELi2ELi16ELi16ELi2ELi2EEviiiPKT0_S5_PT_PKfS9_ii,"axG",@progbits,_Z13wvSplitKQ_hf_I14__hip_bfloat16N3c1013Float8_e4m3fnELi64ELi2ELi16ELi16ELi2ELi2EEviiiPKT0_S5_PT_PKfS9_ii,comdat
.Lfunc_end53:
	.size	_Z13wvSplitKQ_hf_I14__hip_bfloat16N3c1013Float8_e4m3fnELi64ELi2ELi16ELi16ELi2ELi2EEviiiPKT0_S5_PT_PKfS9_ii, .Lfunc_end53-_Z13wvSplitKQ_hf_I14__hip_bfloat16N3c1013Float8_e4m3fnELi64ELi2ELi16ELi16ELi2ELi2EEviiiPKT0_S5_PT_PKfS9_ii
                                        ; -- End function
	.set _Z13wvSplitKQ_hf_I14__hip_bfloat16N3c1013Float8_e4m3fnELi64ELi2ELi16ELi16ELi2ELi2EEviiiPKT0_S5_PT_PKfS9_ii.num_vgpr, max(3, .L__assert_fail.num_vgpr)
	.set _Z13wvSplitKQ_hf_I14__hip_bfloat16N3c1013Float8_e4m3fnELi64ELi2ELi16ELi16ELi2ELi2EEviiiPKT0_S5_PT_PKfS9_ii.num_agpr, max(0, .L__assert_fail.num_agpr)
	.set _Z13wvSplitKQ_hf_I14__hip_bfloat16N3c1013Float8_e4m3fnELi64ELi2ELi16ELi16ELi2ELi2EEviiiPKT0_S5_PT_PKfS9_ii.numbered_sgpr, max(33, .L__assert_fail.numbered_sgpr)
	.set _Z13wvSplitKQ_hf_I14__hip_bfloat16N3c1013Float8_e4m3fnELi64ELi2ELi16ELi16ELi2ELi2EEviiiPKT0_S5_PT_PKfS9_ii.num_named_barrier, max(0, .L__assert_fail.num_named_barrier)
	.set _Z13wvSplitKQ_hf_I14__hip_bfloat16N3c1013Float8_e4m3fnELi64ELi2ELi16ELi16ELi2ELi2EEviiiPKT0_S5_PT_PKfS9_ii.private_seg_size, 0+max(.L__assert_fail.private_seg_size)
	.set _Z13wvSplitKQ_hf_I14__hip_bfloat16N3c1013Float8_e4m3fnELi64ELi2ELi16ELi16ELi2ELi2EEviiiPKT0_S5_PT_PKfS9_ii.uses_vcc, or(1, .L__assert_fail.uses_vcc)
	.set _Z13wvSplitKQ_hf_I14__hip_bfloat16N3c1013Float8_e4m3fnELi64ELi2ELi16ELi16ELi2ELi2EEviiiPKT0_S5_PT_PKfS9_ii.uses_flat_scratch, or(0, .L__assert_fail.uses_flat_scratch)
	.set _Z13wvSplitKQ_hf_I14__hip_bfloat16N3c1013Float8_e4m3fnELi64ELi2ELi16ELi16ELi2ELi2EEviiiPKT0_S5_PT_PKfS9_ii.has_dyn_sized_stack, or(0, .L__assert_fail.has_dyn_sized_stack)
	.set _Z13wvSplitKQ_hf_I14__hip_bfloat16N3c1013Float8_e4m3fnELi64ELi2ELi16ELi16ELi2ELi2EEviiiPKT0_S5_PT_PKfS9_ii.has_recursion, or(0, .L__assert_fail.has_recursion)
	.set _Z13wvSplitKQ_hf_I14__hip_bfloat16N3c1013Float8_e4m3fnELi64ELi2ELi16ELi16ELi2ELi2EEviiiPKT0_S5_PT_PKfS9_ii.has_indirect_call, or(0, .L__assert_fail.has_indirect_call)
	.section	.AMDGPU.csdata,"",@progbits
; Kernel info:
; codeLenInByte = 64
; TotalNumSgprs: 36
; NumVgprs: 51
; ScratchSize: 64
; MemoryBound: 0
; FloatMode: 240
; IeeeMode: 1
; LDSByteSize: 0 bytes/workgroup (compile time only)
; SGPRBlocks: 0
; VGPRBlocks: 3
; NumSGPRsForWavesPerEU: 36
; NumVGPRsForWavesPerEU: 51
; NamedBarCnt: 0
; Occupancy: 16
; WaveLimiterHint : 1
; COMPUTE_PGM_RSRC2:SCRATCH_EN: 1
; COMPUTE_PGM_RSRC2:USER_SGPR: 2
; COMPUTE_PGM_RSRC2:TRAP_HANDLER: 0
; COMPUTE_PGM_RSRC2:TGID_X_EN: 1
; COMPUTE_PGM_RSRC2:TGID_Y_EN: 0
; COMPUTE_PGM_RSRC2:TGID_Z_EN: 0
; COMPUTE_PGM_RSRC2:TIDIG_COMP_CNT: 0
	.section	.text._Z17wvSplitKQ_hf_sml_I14__hip_bfloat16N3c1013Float8_e4m3fnELi64ELi4ELi16ELi16ELi1ELi3EEviiiPKT0_S5_PT_PKfS9_ii,"axG",@progbits,_Z17wvSplitKQ_hf_sml_I14__hip_bfloat16N3c1013Float8_e4m3fnELi64ELi4ELi16ELi16ELi1ELi3EEviiiPKT0_S5_PT_PKfS9_ii,comdat
	.protected	_Z17wvSplitKQ_hf_sml_I14__hip_bfloat16N3c1013Float8_e4m3fnELi64ELi4ELi16ELi16ELi1ELi3EEviiiPKT0_S5_PT_PKfS9_ii ; -- Begin function _Z17wvSplitKQ_hf_sml_I14__hip_bfloat16N3c1013Float8_e4m3fnELi64ELi4ELi16ELi16ELi1ELi3EEviiiPKT0_S5_PT_PKfS9_ii
	.globl	_Z17wvSplitKQ_hf_sml_I14__hip_bfloat16N3c1013Float8_e4m3fnELi64ELi4ELi16ELi16ELi1ELi3EEviiiPKT0_S5_PT_PKfS9_ii
	.p2align	8
	.type	_Z17wvSplitKQ_hf_sml_I14__hip_bfloat16N3c1013Float8_e4m3fnELi64ELi4ELi16ELi16ELi1ELi3EEviiiPKT0_S5_PT_PKfS9_ii,@function
_Z17wvSplitKQ_hf_sml_I14__hip_bfloat16N3c1013Float8_e4m3fnELi64ELi4ELi16ELi16ELi1ELi3EEviiiPKT0_S5_PT_PKfS9_ii: ; @_Z17wvSplitKQ_hf_sml_I14__hip_bfloat16N3c1013Float8_e4m3fnELi64ELi4ELi16ELi16ELi1ELi3EEviiiPKT0_S5_PT_PKfS9_ii
; %bb.0:
	s_get_pc_i64 s[2:3]
	s_add_nc_u64 s[2:3], s[2:3], __PRETTY_FUNCTION__._Z17wvSplitKQ_hf_sml_I14__hip_bfloat16N3c1013Float8_e4m3fnELi64ELi4ELi16ELi16ELi1ELi3EEviiiPKT0_S5_PT_PKfS9_ii@rel64+4
	s_delay_alu instid0(SALU_CYCLE_1)
	v_dual_mov_b32 v0, 0x5c1 :: v_dual_mov_b32 v1, s2
	v_mov_b32_e32 v2, s3
	s_add_nc_u64 s[8:9], s[0:1], 64
	s_get_pc_i64 s[0:1]
	s_add_nc_u64 s[0:1], s[0:1], __assert_fail@rel64+4
	s_mov_b32 s32, 0
	s_swap_pc_i64 s[30:31], s[0:1]
	.section	.rodata,"a",@progbits
	.p2align	6, 0x0
	.amdhsa_kernel _Z17wvSplitKQ_hf_sml_I14__hip_bfloat16N3c1013Float8_e4m3fnELi64ELi4ELi16ELi16ELi1ELi3EEviiiPKT0_S5_PT_PKfS9_ii
		.amdhsa_group_segment_fixed_size 0
		.amdhsa_private_segment_fixed_size 64
		.amdhsa_kernarg_size 320
		.amdhsa_user_sgpr_count 2
		.amdhsa_user_sgpr_dispatch_ptr 0
		.amdhsa_user_sgpr_queue_ptr 0
		.amdhsa_user_sgpr_kernarg_segment_ptr 1
		.amdhsa_user_sgpr_dispatch_id 0
		.amdhsa_user_sgpr_kernarg_preload_length 0
		.amdhsa_user_sgpr_kernarg_preload_offset 0
		.amdhsa_user_sgpr_private_segment_size 0
		.amdhsa_wavefront_size32 1
		.amdhsa_uses_dynamic_stack 0
		.amdhsa_enable_private_segment 1
		.amdhsa_system_sgpr_workgroup_id_x 1
		.amdhsa_system_sgpr_workgroup_id_y 0
		.amdhsa_system_sgpr_workgroup_id_z 0
		.amdhsa_system_sgpr_workgroup_info 0
		.amdhsa_system_vgpr_workitem_id 0
		.amdhsa_next_free_vgpr 51
		.amdhsa_next_free_sgpr 34
		.amdhsa_named_barrier_count 0
		.amdhsa_reserve_vcc 1
		.amdhsa_float_round_mode_32 0
		.amdhsa_float_round_mode_16_64 0
		.amdhsa_float_denorm_mode_32 3
		.amdhsa_float_denorm_mode_16_64 3
		.amdhsa_fp16_overflow 0
		.amdhsa_memory_ordered 1
		.amdhsa_forward_progress 1
		.amdhsa_inst_pref_size 1
		.amdhsa_round_robin_scheduling 0
		.amdhsa_exception_fp_ieee_invalid_op 0
		.amdhsa_exception_fp_denorm_src 0
		.amdhsa_exception_fp_ieee_div_zero 0
		.amdhsa_exception_fp_ieee_overflow 0
		.amdhsa_exception_fp_ieee_underflow 0
		.amdhsa_exception_fp_ieee_inexact 0
		.amdhsa_exception_int_div_zero 0
	.end_amdhsa_kernel
	.section	.text._Z17wvSplitKQ_hf_sml_I14__hip_bfloat16N3c1013Float8_e4m3fnELi64ELi4ELi16ELi16ELi1ELi3EEviiiPKT0_S5_PT_PKfS9_ii,"axG",@progbits,_Z17wvSplitKQ_hf_sml_I14__hip_bfloat16N3c1013Float8_e4m3fnELi64ELi4ELi16ELi16ELi1ELi3EEviiiPKT0_S5_PT_PKfS9_ii,comdat
.Lfunc_end54:
	.size	_Z17wvSplitKQ_hf_sml_I14__hip_bfloat16N3c1013Float8_e4m3fnELi64ELi4ELi16ELi16ELi1ELi3EEviiiPKT0_S5_PT_PKfS9_ii, .Lfunc_end54-_Z17wvSplitKQ_hf_sml_I14__hip_bfloat16N3c1013Float8_e4m3fnELi64ELi4ELi16ELi16ELi1ELi3EEviiiPKT0_S5_PT_PKfS9_ii
                                        ; -- End function
	.set _Z17wvSplitKQ_hf_sml_I14__hip_bfloat16N3c1013Float8_e4m3fnELi64ELi4ELi16ELi16ELi1ELi3EEviiiPKT0_S5_PT_PKfS9_ii.num_vgpr, max(3, .L__assert_fail.num_vgpr)
	.set _Z17wvSplitKQ_hf_sml_I14__hip_bfloat16N3c1013Float8_e4m3fnELi64ELi4ELi16ELi16ELi1ELi3EEviiiPKT0_S5_PT_PKfS9_ii.num_agpr, max(0, .L__assert_fail.num_agpr)
	.set _Z17wvSplitKQ_hf_sml_I14__hip_bfloat16N3c1013Float8_e4m3fnELi64ELi4ELi16ELi16ELi1ELi3EEviiiPKT0_S5_PT_PKfS9_ii.numbered_sgpr, max(33, .L__assert_fail.numbered_sgpr)
	.set _Z17wvSplitKQ_hf_sml_I14__hip_bfloat16N3c1013Float8_e4m3fnELi64ELi4ELi16ELi16ELi1ELi3EEviiiPKT0_S5_PT_PKfS9_ii.num_named_barrier, max(0, .L__assert_fail.num_named_barrier)
	.set _Z17wvSplitKQ_hf_sml_I14__hip_bfloat16N3c1013Float8_e4m3fnELi64ELi4ELi16ELi16ELi1ELi3EEviiiPKT0_S5_PT_PKfS9_ii.private_seg_size, 0+max(.L__assert_fail.private_seg_size)
	.set _Z17wvSplitKQ_hf_sml_I14__hip_bfloat16N3c1013Float8_e4m3fnELi64ELi4ELi16ELi16ELi1ELi3EEviiiPKT0_S5_PT_PKfS9_ii.uses_vcc, or(1, .L__assert_fail.uses_vcc)
	.set _Z17wvSplitKQ_hf_sml_I14__hip_bfloat16N3c1013Float8_e4m3fnELi64ELi4ELi16ELi16ELi1ELi3EEviiiPKT0_S5_PT_PKfS9_ii.uses_flat_scratch, or(0, .L__assert_fail.uses_flat_scratch)
	.set _Z17wvSplitKQ_hf_sml_I14__hip_bfloat16N3c1013Float8_e4m3fnELi64ELi4ELi16ELi16ELi1ELi3EEviiiPKT0_S5_PT_PKfS9_ii.has_dyn_sized_stack, or(0, .L__assert_fail.has_dyn_sized_stack)
	.set _Z17wvSplitKQ_hf_sml_I14__hip_bfloat16N3c1013Float8_e4m3fnELi64ELi4ELi16ELi16ELi1ELi3EEviiiPKT0_S5_PT_PKfS9_ii.has_recursion, or(0, .L__assert_fail.has_recursion)
	.set _Z17wvSplitKQ_hf_sml_I14__hip_bfloat16N3c1013Float8_e4m3fnELi64ELi4ELi16ELi16ELi1ELi3EEviiiPKT0_S5_PT_PKfS9_ii.has_indirect_call, or(0, .L__assert_fail.has_indirect_call)
	.section	.AMDGPU.csdata,"",@progbits
; Kernel info:
; codeLenInByte = 64
; TotalNumSgprs: 36
; NumVgprs: 51
; ScratchSize: 64
; MemoryBound: 0
; FloatMode: 240
; IeeeMode: 1
; LDSByteSize: 0 bytes/workgroup (compile time only)
; SGPRBlocks: 0
; VGPRBlocks: 3
; NumSGPRsForWavesPerEU: 36
; NumVGPRsForWavesPerEU: 51
; NamedBarCnt: 0
; Occupancy: 16
; WaveLimiterHint : 1
; COMPUTE_PGM_RSRC2:SCRATCH_EN: 1
; COMPUTE_PGM_RSRC2:USER_SGPR: 2
; COMPUTE_PGM_RSRC2:TRAP_HANDLER: 0
; COMPUTE_PGM_RSRC2:TGID_X_EN: 1
; COMPUTE_PGM_RSRC2:TGID_Y_EN: 0
; COMPUTE_PGM_RSRC2:TGID_Z_EN: 0
; COMPUTE_PGM_RSRC2:TIDIG_COMP_CNT: 0
	.section	.text._Z13wvSplitKQ_hf_I14__hip_bfloat16N3c1013Float8_e4m3fnELi64ELi7ELi16ELi16ELi1ELi3EEviiiPKT0_S5_PT_PKfS9_ii,"axG",@progbits,_Z13wvSplitKQ_hf_I14__hip_bfloat16N3c1013Float8_e4m3fnELi64ELi7ELi16ELi16ELi1ELi3EEviiiPKT0_S5_PT_PKfS9_ii,comdat
	.protected	_Z13wvSplitKQ_hf_I14__hip_bfloat16N3c1013Float8_e4m3fnELi64ELi7ELi16ELi16ELi1ELi3EEviiiPKT0_S5_PT_PKfS9_ii ; -- Begin function _Z13wvSplitKQ_hf_I14__hip_bfloat16N3c1013Float8_e4m3fnELi64ELi7ELi16ELi16ELi1ELi3EEviiiPKT0_S5_PT_PKfS9_ii
	.globl	_Z13wvSplitKQ_hf_I14__hip_bfloat16N3c1013Float8_e4m3fnELi64ELi7ELi16ELi16ELi1ELi3EEviiiPKT0_S5_PT_PKfS9_ii
	.p2align	8
	.type	_Z13wvSplitKQ_hf_I14__hip_bfloat16N3c1013Float8_e4m3fnELi64ELi7ELi16ELi16ELi1ELi3EEviiiPKT0_S5_PT_PKfS9_ii,@function
_Z13wvSplitKQ_hf_I14__hip_bfloat16N3c1013Float8_e4m3fnELi64ELi7ELi16ELi16ELi1ELi3EEviiiPKT0_S5_PT_PKfS9_ii: ; @_Z13wvSplitKQ_hf_I14__hip_bfloat16N3c1013Float8_e4m3fnELi64ELi7ELi16ELi16ELi1ELi3EEviiiPKT0_S5_PT_PKfS9_ii
; %bb.0:
	s_get_pc_i64 s[2:3]
	s_add_nc_u64 s[2:3], s[2:3], __PRETTY_FUNCTION__._Z13wvSplitKQ_hf_I14__hip_bfloat16N3c1013Float8_e4m3fnELi64ELi7ELi16ELi16ELi1ELi3EEviiiPKT0_S5_PT_PKfS9_ii@rel64+4
	s_delay_alu instid0(SALU_CYCLE_1)
	v_dual_mov_b32 v0, 0x66e :: v_dual_mov_b32 v1, s2
	v_mov_b32_e32 v2, s3
	s_add_nc_u64 s[8:9], s[0:1], 64
	s_get_pc_i64 s[0:1]
	s_add_nc_u64 s[0:1], s[0:1], __assert_fail@rel64+4
	s_mov_b32 s32, 0
	s_swap_pc_i64 s[30:31], s[0:1]
	.section	.rodata,"a",@progbits
	.p2align	6, 0x0
	.amdhsa_kernel _Z13wvSplitKQ_hf_I14__hip_bfloat16N3c1013Float8_e4m3fnELi64ELi7ELi16ELi16ELi1ELi3EEviiiPKT0_S5_PT_PKfS9_ii
		.amdhsa_group_segment_fixed_size 0
		.amdhsa_private_segment_fixed_size 64
		.amdhsa_kernarg_size 320
		.amdhsa_user_sgpr_count 2
		.amdhsa_user_sgpr_dispatch_ptr 0
		.amdhsa_user_sgpr_queue_ptr 0
		.amdhsa_user_sgpr_kernarg_segment_ptr 1
		.amdhsa_user_sgpr_dispatch_id 0
		.amdhsa_user_sgpr_kernarg_preload_length 0
		.amdhsa_user_sgpr_kernarg_preload_offset 0
		.amdhsa_user_sgpr_private_segment_size 0
		.amdhsa_wavefront_size32 1
		.amdhsa_uses_dynamic_stack 0
		.amdhsa_enable_private_segment 1
		.amdhsa_system_sgpr_workgroup_id_x 1
		.amdhsa_system_sgpr_workgroup_id_y 0
		.amdhsa_system_sgpr_workgroup_id_z 0
		.amdhsa_system_sgpr_workgroup_info 0
		.amdhsa_system_vgpr_workitem_id 0
		.amdhsa_next_free_vgpr 51
		.amdhsa_next_free_sgpr 34
		.amdhsa_named_barrier_count 0
		.amdhsa_reserve_vcc 1
		.amdhsa_float_round_mode_32 0
		.amdhsa_float_round_mode_16_64 0
		.amdhsa_float_denorm_mode_32 3
		.amdhsa_float_denorm_mode_16_64 3
		.amdhsa_fp16_overflow 0
		.amdhsa_memory_ordered 1
		.amdhsa_forward_progress 1
		.amdhsa_inst_pref_size 1
		.amdhsa_round_robin_scheduling 0
		.amdhsa_exception_fp_ieee_invalid_op 0
		.amdhsa_exception_fp_denorm_src 0
		.amdhsa_exception_fp_ieee_div_zero 0
		.amdhsa_exception_fp_ieee_overflow 0
		.amdhsa_exception_fp_ieee_underflow 0
		.amdhsa_exception_fp_ieee_inexact 0
		.amdhsa_exception_int_div_zero 0
	.end_amdhsa_kernel
	.section	.text._Z13wvSplitKQ_hf_I14__hip_bfloat16N3c1013Float8_e4m3fnELi64ELi7ELi16ELi16ELi1ELi3EEviiiPKT0_S5_PT_PKfS9_ii,"axG",@progbits,_Z13wvSplitKQ_hf_I14__hip_bfloat16N3c1013Float8_e4m3fnELi64ELi7ELi16ELi16ELi1ELi3EEviiiPKT0_S5_PT_PKfS9_ii,comdat
.Lfunc_end55:
	.size	_Z13wvSplitKQ_hf_I14__hip_bfloat16N3c1013Float8_e4m3fnELi64ELi7ELi16ELi16ELi1ELi3EEviiiPKT0_S5_PT_PKfS9_ii, .Lfunc_end55-_Z13wvSplitKQ_hf_I14__hip_bfloat16N3c1013Float8_e4m3fnELi64ELi7ELi16ELi16ELi1ELi3EEviiiPKT0_S5_PT_PKfS9_ii
                                        ; -- End function
	.set _Z13wvSplitKQ_hf_I14__hip_bfloat16N3c1013Float8_e4m3fnELi64ELi7ELi16ELi16ELi1ELi3EEviiiPKT0_S5_PT_PKfS9_ii.num_vgpr, max(3, .L__assert_fail.num_vgpr)
	.set _Z13wvSplitKQ_hf_I14__hip_bfloat16N3c1013Float8_e4m3fnELi64ELi7ELi16ELi16ELi1ELi3EEviiiPKT0_S5_PT_PKfS9_ii.num_agpr, max(0, .L__assert_fail.num_agpr)
	.set _Z13wvSplitKQ_hf_I14__hip_bfloat16N3c1013Float8_e4m3fnELi64ELi7ELi16ELi16ELi1ELi3EEviiiPKT0_S5_PT_PKfS9_ii.numbered_sgpr, max(33, .L__assert_fail.numbered_sgpr)
	.set _Z13wvSplitKQ_hf_I14__hip_bfloat16N3c1013Float8_e4m3fnELi64ELi7ELi16ELi16ELi1ELi3EEviiiPKT0_S5_PT_PKfS9_ii.num_named_barrier, max(0, .L__assert_fail.num_named_barrier)
	.set _Z13wvSplitKQ_hf_I14__hip_bfloat16N3c1013Float8_e4m3fnELi64ELi7ELi16ELi16ELi1ELi3EEviiiPKT0_S5_PT_PKfS9_ii.private_seg_size, 0+max(.L__assert_fail.private_seg_size)
	.set _Z13wvSplitKQ_hf_I14__hip_bfloat16N3c1013Float8_e4m3fnELi64ELi7ELi16ELi16ELi1ELi3EEviiiPKT0_S5_PT_PKfS9_ii.uses_vcc, or(1, .L__assert_fail.uses_vcc)
	.set _Z13wvSplitKQ_hf_I14__hip_bfloat16N3c1013Float8_e4m3fnELi64ELi7ELi16ELi16ELi1ELi3EEviiiPKT0_S5_PT_PKfS9_ii.uses_flat_scratch, or(0, .L__assert_fail.uses_flat_scratch)
	.set _Z13wvSplitKQ_hf_I14__hip_bfloat16N3c1013Float8_e4m3fnELi64ELi7ELi16ELi16ELi1ELi3EEviiiPKT0_S5_PT_PKfS9_ii.has_dyn_sized_stack, or(0, .L__assert_fail.has_dyn_sized_stack)
	.set _Z13wvSplitKQ_hf_I14__hip_bfloat16N3c1013Float8_e4m3fnELi64ELi7ELi16ELi16ELi1ELi3EEviiiPKT0_S5_PT_PKfS9_ii.has_recursion, or(0, .L__assert_fail.has_recursion)
	.set _Z13wvSplitKQ_hf_I14__hip_bfloat16N3c1013Float8_e4m3fnELi64ELi7ELi16ELi16ELi1ELi3EEviiiPKT0_S5_PT_PKfS9_ii.has_indirect_call, or(0, .L__assert_fail.has_indirect_call)
	.section	.AMDGPU.csdata,"",@progbits
; Kernel info:
; codeLenInByte = 64
; TotalNumSgprs: 36
; NumVgprs: 51
; ScratchSize: 64
; MemoryBound: 0
; FloatMode: 240
; IeeeMode: 1
; LDSByteSize: 0 bytes/workgroup (compile time only)
; SGPRBlocks: 0
; VGPRBlocks: 3
; NumSGPRsForWavesPerEU: 36
; NumVGPRsForWavesPerEU: 51
; NamedBarCnt: 0
; Occupancy: 16
; WaveLimiterHint : 1
; COMPUTE_PGM_RSRC2:SCRATCH_EN: 1
; COMPUTE_PGM_RSRC2:USER_SGPR: 2
; COMPUTE_PGM_RSRC2:TRAP_HANDLER: 0
; COMPUTE_PGM_RSRC2:TGID_X_EN: 1
; COMPUTE_PGM_RSRC2:TGID_Y_EN: 0
; COMPUTE_PGM_RSRC2:TGID_Z_EN: 0
; COMPUTE_PGM_RSRC2:TIDIG_COMP_CNT: 0
	.section	.text._Z17wvSplitKQ_hf_sml_I14__hip_bfloat16N3c1013Float8_e4m3fnELi64ELi4ELi16ELi16ELi1ELi4EEviiiPKT0_S5_PT_PKfS9_ii,"axG",@progbits,_Z17wvSplitKQ_hf_sml_I14__hip_bfloat16N3c1013Float8_e4m3fnELi64ELi4ELi16ELi16ELi1ELi4EEviiiPKT0_S5_PT_PKfS9_ii,comdat
	.protected	_Z17wvSplitKQ_hf_sml_I14__hip_bfloat16N3c1013Float8_e4m3fnELi64ELi4ELi16ELi16ELi1ELi4EEviiiPKT0_S5_PT_PKfS9_ii ; -- Begin function _Z17wvSplitKQ_hf_sml_I14__hip_bfloat16N3c1013Float8_e4m3fnELi64ELi4ELi16ELi16ELi1ELi4EEviiiPKT0_S5_PT_PKfS9_ii
	.globl	_Z17wvSplitKQ_hf_sml_I14__hip_bfloat16N3c1013Float8_e4m3fnELi64ELi4ELi16ELi16ELi1ELi4EEviiiPKT0_S5_PT_PKfS9_ii
	.p2align	8
	.type	_Z17wvSplitKQ_hf_sml_I14__hip_bfloat16N3c1013Float8_e4m3fnELi64ELi4ELi16ELi16ELi1ELi4EEviiiPKT0_S5_PT_PKfS9_ii,@function
_Z17wvSplitKQ_hf_sml_I14__hip_bfloat16N3c1013Float8_e4m3fnELi64ELi4ELi16ELi16ELi1ELi4EEviiiPKT0_S5_PT_PKfS9_ii: ; @_Z17wvSplitKQ_hf_sml_I14__hip_bfloat16N3c1013Float8_e4m3fnELi64ELi4ELi16ELi16ELi1ELi4EEviiiPKT0_S5_PT_PKfS9_ii
; %bb.0:
	s_get_pc_i64 s[2:3]
	s_add_nc_u64 s[2:3], s[2:3], __PRETTY_FUNCTION__._Z17wvSplitKQ_hf_sml_I14__hip_bfloat16N3c1013Float8_e4m3fnELi64ELi4ELi16ELi16ELi1ELi4EEviiiPKT0_S5_PT_PKfS9_ii@rel64+4
	s_delay_alu instid0(SALU_CYCLE_1)
	v_dual_mov_b32 v0, 0x5c1 :: v_dual_mov_b32 v1, s2
	v_mov_b32_e32 v2, s3
	s_add_nc_u64 s[8:9], s[0:1], 64
	s_get_pc_i64 s[0:1]
	s_add_nc_u64 s[0:1], s[0:1], __assert_fail@rel64+4
	s_mov_b32 s32, 0
	s_swap_pc_i64 s[30:31], s[0:1]
	.section	.rodata,"a",@progbits
	.p2align	6, 0x0
	.amdhsa_kernel _Z17wvSplitKQ_hf_sml_I14__hip_bfloat16N3c1013Float8_e4m3fnELi64ELi4ELi16ELi16ELi1ELi4EEviiiPKT0_S5_PT_PKfS9_ii
		.amdhsa_group_segment_fixed_size 0
		.amdhsa_private_segment_fixed_size 64
		.amdhsa_kernarg_size 320
		.amdhsa_user_sgpr_count 2
		.amdhsa_user_sgpr_dispatch_ptr 0
		.amdhsa_user_sgpr_queue_ptr 0
		.amdhsa_user_sgpr_kernarg_segment_ptr 1
		.amdhsa_user_sgpr_dispatch_id 0
		.amdhsa_user_sgpr_kernarg_preload_length 0
		.amdhsa_user_sgpr_kernarg_preload_offset 0
		.amdhsa_user_sgpr_private_segment_size 0
		.amdhsa_wavefront_size32 1
		.amdhsa_uses_dynamic_stack 0
		.amdhsa_enable_private_segment 1
		.amdhsa_system_sgpr_workgroup_id_x 1
		.amdhsa_system_sgpr_workgroup_id_y 0
		.amdhsa_system_sgpr_workgroup_id_z 0
		.amdhsa_system_sgpr_workgroup_info 0
		.amdhsa_system_vgpr_workitem_id 0
		.amdhsa_next_free_vgpr 51
		.amdhsa_next_free_sgpr 34
		.amdhsa_named_barrier_count 0
		.amdhsa_reserve_vcc 1
		.amdhsa_float_round_mode_32 0
		.amdhsa_float_round_mode_16_64 0
		.amdhsa_float_denorm_mode_32 3
		.amdhsa_float_denorm_mode_16_64 3
		.amdhsa_fp16_overflow 0
		.amdhsa_memory_ordered 1
		.amdhsa_forward_progress 1
		.amdhsa_inst_pref_size 1
		.amdhsa_round_robin_scheduling 0
		.amdhsa_exception_fp_ieee_invalid_op 0
		.amdhsa_exception_fp_denorm_src 0
		.amdhsa_exception_fp_ieee_div_zero 0
		.amdhsa_exception_fp_ieee_overflow 0
		.amdhsa_exception_fp_ieee_underflow 0
		.amdhsa_exception_fp_ieee_inexact 0
		.amdhsa_exception_int_div_zero 0
	.end_amdhsa_kernel
	.section	.text._Z17wvSplitKQ_hf_sml_I14__hip_bfloat16N3c1013Float8_e4m3fnELi64ELi4ELi16ELi16ELi1ELi4EEviiiPKT0_S5_PT_PKfS9_ii,"axG",@progbits,_Z17wvSplitKQ_hf_sml_I14__hip_bfloat16N3c1013Float8_e4m3fnELi64ELi4ELi16ELi16ELi1ELi4EEviiiPKT0_S5_PT_PKfS9_ii,comdat
.Lfunc_end56:
	.size	_Z17wvSplitKQ_hf_sml_I14__hip_bfloat16N3c1013Float8_e4m3fnELi64ELi4ELi16ELi16ELi1ELi4EEviiiPKT0_S5_PT_PKfS9_ii, .Lfunc_end56-_Z17wvSplitKQ_hf_sml_I14__hip_bfloat16N3c1013Float8_e4m3fnELi64ELi4ELi16ELi16ELi1ELi4EEviiiPKT0_S5_PT_PKfS9_ii
                                        ; -- End function
	.set _Z17wvSplitKQ_hf_sml_I14__hip_bfloat16N3c1013Float8_e4m3fnELi64ELi4ELi16ELi16ELi1ELi4EEviiiPKT0_S5_PT_PKfS9_ii.num_vgpr, max(3, .L__assert_fail.num_vgpr)
	.set _Z17wvSplitKQ_hf_sml_I14__hip_bfloat16N3c1013Float8_e4m3fnELi64ELi4ELi16ELi16ELi1ELi4EEviiiPKT0_S5_PT_PKfS9_ii.num_agpr, max(0, .L__assert_fail.num_agpr)
	.set _Z17wvSplitKQ_hf_sml_I14__hip_bfloat16N3c1013Float8_e4m3fnELi64ELi4ELi16ELi16ELi1ELi4EEviiiPKT0_S5_PT_PKfS9_ii.numbered_sgpr, max(33, .L__assert_fail.numbered_sgpr)
	.set _Z17wvSplitKQ_hf_sml_I14__hip_bfloat16N3c1013Float8_e4m3fnELi64ELi4ELi16ELi16ELi1ELi4EEviiiPKT0_S5_PT_PKfS9_ii.num_named_barrier, max(0, .L__assert_fail.num_named_barrier)
	.set _Z17wvSplitKQ_hf_sml_I14__hip_bfloat16N3c1013Float8_e4m3fnELi64ELi4ELi16ELi16ELi1ELi4EEviiiPKT0_S5_PT_PKfS9_ii.private_seg_size, 0+max(.L__assert_fail.private_seg_size)
	.set _Z17wvSplitKQ_hf_sml_I14__hip_bfloat16N3c1013Float8_e4m3fnELi64ELi4ELi16ELi16ELi1ELi4EEviiiPKT0_S5_PT_PKfS9_ii.uses_vcc, or(1, .L__assert_fail.uses_vcc)
	.set _Z17wvSplitKQ_hf_sml_I14__hip_bfloat16N3c1013Float8_e4m3fnELi64ELi4ELi16ELi16ELi1ELi4EEviiiPKT0_S5_PT_PKfS9_ii.uses_flat_scratch, or(0, .L__assert_fail.uses_flat_scratch)
	.set _Z17wvSplitKQ_hf_sml_I14__hip_bfloat16N3c1013Float8_e4m3fnELi64ELi4ELi16ELi16ELi1ELi4EEviiiPKT0_S5_PT_PKfS9_ii.has_dyn_sized_stack, or(0, .L__assert_fail.has_dyn_sized_stack)
	.set _Z17wvSplitKQ_hf_sml_I14__hip_bfloat16N3c1013Float8_e4m3fnELi64ELi4ELi16ELi16ELi1ELi4EEviiiPKT0_S5_PT_PKfS9_ii.has_recursion, or(0, .L__assert_fail.has_recursion)
	.set _Z17wvSplitKQ_hf_sml_I14__hip_bfloat16N3c1013Float8_e4m3fnELi64ELi4ELi16ELi16ELi1ELi4EEviiiPKT0_S5_PT_PKfS9_ii.has_indirect_call, or(0, .L__assert_fail.has_indirect_call)
	.section	.AMDGPU.csdata,"",@progbits
; Kernel info:
; codeLenInByte = 64
; TotalNumSgprs: 36
; NumVgprs: 51
; ScratchSize: 64
; MemoryBound: 0
; FloatMode: 240
; IeeeMode: 1
; LDSByteSize: 0 bytes/workgroup (compile time only)
; SGPRBlocks: 0
; VGPRBlocks: 3
; NumSGPRsForWavesPerEU: 36
; NumVGPRsForWavesPerEU: 51
; NamedBarCnt: 0
; Occupancy: 16
; WaveLimiterHint : 1
; COMPUTE_PGM_RSRC2:SCRATCH_EN: 1
; COMPUTE_PGM_RSRC2:USER_SGPR: 2
; COMPUTE_PGM_RSRC2:TRAP_HANDLER: 0
; COMPUTE_PGM_RSRC2:TGID_X_EN: 1
; COMPUTE_PGM_RSRC2:TGID_Y_EN: 0
; COMPUTE_PGM_RSRC2:TGID_Z_EN: 0
; COMPUTE_PGM_RSRC2:TIDIG_COMP_CNT: 0
	.section	.text._Z13wvSplitKQ_hf_I14__hip_bfloat16N3c1013Float8_e4m3fnELi64ELi7ELi16ELi16ELi1ELi4EEviiiPKT0_S5_PT_PKfS9_ii,"axG",@progbits,_Z13wvSplitKQ_hf_I14__hip_bfloat16N3c1013Float8_e4m3fnELi64ELi7ELi16ELi16ELi1ELi4EEviiiPKT0_S5_PT_PKfS9_ii,comdat
	.protected	_Z13wvSplitKQ_hf_I14__hip_bfloat16N3c1013Float8_e4m3fnELi64ELi7ELi16ELi16ELi1ELi4EEviiiPKT0_S5_PT_PKfS9_ii ; -- Begin function _Z13wvSplitKQ_hf_I14__hip_bfloat16N3c1013Float8_e4m3fnELi64ELi7ELi16ELi16ELi1ELi4EEviiiPKT0_S5_PT_PKfS9_ii
	.globl	_Z13wvSplitKQ_hf_I14__hip_bfloat16N3c1013Float8_e4m3fnELi64ELi7ELi16ELi16ELi1ELi4EEviiiPKT0_S5_PT_PKfS9_ii
	.p2align	8
	.type	_Z13wvSplitKQ_hf_I14__hip_bfloat16N3c1013Float8_e4m3fnELi64ELi7ELi16ELi16ELi1ELi4EEviiiPKT0_S5_PT_PKfS9_ii,@function
_Z13wvSplitKQ_hf_I14__hip_bfloat16N3c1013Float8_e4m3fnELi64ELi7ELi16ELi16ELi1ELi4EEviiiPKT0_S5_PT_PKfS9_ii: ; @_Z13wvSplitKQ_hf_I14__hip_bfloat16N3c1013Float8_e4m3fnELi64ELi7ELi16ELi16ELi1ELi4EEviiiPKT0_S5_PT_PKfS9_ii
; %bb.0:
	s_get_pc_i64 s[2:3]
	s_add_nc_u64 s[2:3], s[2:3], __PRETTY_FUNCTION__._Z13wvSplitKQ_hf_I14__hip_bfloat16N3c1013Float8_e4m3fnELi64ELi7ELi16ELi16ELi1ELi4EEviiiPKT0_S5_PT_PKfS9_ii@rel64+4
	s_delay_alu instid0(SALU_CYCLE_1)
	v_dual_mov_b32 v0, 0x66e :: v_dual_mov_b32 v1, s2
	v_mov_b32_e32 v2, s3
	s_add_nc_u64 s[8:9], s[0:1], 64
	s_get_pc_i64 s[0:1]
	s_add_nc_u64 s[0:1], s[0:1], __assert_fail@rel64+4
	s_mov_b32 s32, 0
	s_swap_pc_i64 s[30:31], s[0:1]
	.section	.rodata,"a",@progbits
	.p2align	6, 0x0
	.amdhsa_kernel _Z13wvSplitKQ_hf_I14__hip_bfloat16N3c1013Float8_e4m3fnELi64ELi7ELi16ELi16ELi1ELi4EEviiiPKT0_S5_PT_PKfS9_ii
		.amdhsa_group_segment_fixed_size 0
		.amdhsa_private_segment_fixed_size 64
		.amdhsa_kernarg_size 320
		.amdhsa_user_sgpr_count 2
		.amdhsa_user_sgpr_dispatch_ptr 0
		.amdhsa_user_sgpr_queue_ptr 0
		.amdhsa_user_sgpr_kernarg_segment_ptr 1
		.amdhsa_user_sgpr_dispatch_id 0
		.amdhsa_user_sgpr_kernarg_preload_length 0
		.amdhsa_user_sgpr_kernarg_preload_offset 0
		.amdhsa_user_sgpr_private_segment_size 0
		.amdhsa_wavefront_size32 1
		.amdhsa_uses_dynamic_stack 0
		.amdhsa_enable_private_segment 1
		.amdhsa_system_sgpr_workgroup_id_x 1
		.amdhsa_system_sgpr_workgroup_id_y 0
		.amdhsa_system_sgpr_workgroup_id_z 0
		.amdhsa_system_sgpr_workgroup_info 0
		.amdhsa_system_vgpr_workitem_id 0
		.amdhsa_next_free_vgpr 51
		.amdhsa_next_free_sgpr 34
		.amdhsa_named_barrier_count 0
		.amdhsa_reserve_vcc 1
		.amdhsa_float_round_mode_32 0
		.amdhsa_float_round_mode_16_64 0
		.amdhsa_float_denorm_mode_32 3
		.amdhsa_float_denorm_mode_16_64 3
		.amdhsa_fp16_overflow 0
		.amdhsa_memory_ordered 1
		.amdhsa_forward_progress 1
		.amdhsa_inst_pref_size 1
		.amdhsa_round_robin_scheduling 0
		.amdhsa_exception_fp_ieee_invalid_op 0
		.amdhsa_exception_fp_denorm_src 0
		.amdhsa_exception_fp_ieee_div_zero 0
		.amdhsa_exception_fp_ieee_overflow 0
		.amdhsa_exception_fp_ieee_underflow 0
		.amdhsa_exception_fp_ieee_inexact 0
		.amdhsa_exception_int_div_zero 0
	.end_amdhsa_kernel
	.section	.text._Z13wvSplitKQ_hf_I14__hip_bfloat16N3c1013Float8_e4m3fnELi64ELi7ELi16ELi16ELi1ELi4EEviiiPKT0_S5_PT_PKfS9_ii,"axG",@progbits,_Z13wvSplitKQ_hf_I14__hip_bfloat16N3c1013Float8_e4m3fnELi64ELi7ELi16ELi16ELi1ELi4EEviiiPKT0_S5_PT_PKfS9_ii,comdat
.Lfunc_end57:
	.size	_Z13wvSplitKQ_hf_I14__hip_bfloat16N3c1013Float8_e4m3fnELi64ELi7ELi16ELi16ELi1ELi4EEviiiPKT0_S5_PT_PKfS9_ii, .Lfunc_end57-_Z13wvSplitKQ_hf_I14__hip_bfloat16N3c1013Float8_e4m3fnELi64ELi7ELi16ELi16ELi1ELi4EEviiiPKT0_S5_PT_PKfS9_ii
                                        ; -- End function
	.set _Z13wvSplitKQ_hf_I14__hip_bfloat16N3c1013Float8_e4m3fnELi64ELi7ELi16ELi16ELi1ELi4EEviiiPKT0_S5_PT_PKfS9_ii.num_vgpr, max(3, .L__assert_fail.num_vgpr)
	.set _Z13wvSplitKQ_hf_I14__hip_bfloat16N3c1013Float8_e4m3fnELi64ELi7ELi16ELi16ELi1ELi4EEviiiPKT0_S5_PT_PKfS9_ii.num_agpr, max(0, .L__assert_fail.num_agpr)
	.set _Z13wvSplitKQ_hf_I14__hip_bfloat16N3c1013Float8_e4m3fnELi64ELi7ELi16ELi16ELi1ELi4EEviiiPKT0_S5_PT_PKfS9_ii.numbered_sgpr, max(33, .L__assert_fail.numbered_sgpr)
	.set _Z13wvSplitKQ_hf_I14__hip_bfloat16N3c1013Float8_e4m3fnELi64ELi7ELi16ELi16ELi1ELi4EEviiiPKT0_S5_PT_PKfS9_ii.num_named_barrier, max(0, .L__assert_fail.num_named_barrier)
	.set _Z13wvSplitKQ_hf_I14__hip_bfloat16N3c1013Float8_e4m3fnELi64ELi7ELi16ELi16ELi1ELi4EEviiiPKT0_S5_PT_PKfS9_ii.private_seg_size, 0+max(.L__assert_fail.private_seg_size)
	.set _Z13wvSplitKQ_hf_I14__hip_bfloat16N3c1013Float8_e4m3fnELi64ELi7ELi16ELi16ELi1ELi4EEviiiPKT0_S5_PT_PKfS9_ii.uses_vcc, or(1, .L__assert_fail.uses_vcc)
	.set _Z13wvSplitKQ_hf_I14__hip_bfloat16N3c1013Float8_e4m3fnELi64ELi7ELi16ELi16ELi1ELi4EEviiiPKT0_S5_PT_PKfS9_ii.uses_flat_scratch, or(0, .L__assert_fail.uses_flat_scratch)
	.set _Z13wvSplitKQ_hf_I14__hip_bfloat16N3c1013Float8_e4m3fnELi64ELi7ELi16ELi16ELi1ELi4EEviiiPKT0_S5_PT_PKfS9_ii.has_dyn_sized_stack, or(0, .L__assert_fail.has_dyn_sized_stack)
	.set _Z13wvSplitKQ_hf_I14__hip_bfloat16N3c1013Float8_e4m3fnELi64ELi7ELi16ELi16ELi1ELi4EEviiiPKT0_S5_PT_PKfS9_ii.has_recursion, or(0, .L__assert_fail.has_recursion)
	.set _Z13wvSplitKQ_hf_I14__hip_bfloat16N3c1013Float8_e4m3fnELi64ELi7ELi16ELi16ELi1ELi4EEviiiPKT0_S5_PT_PKfS9_ii.has_indirect_call, or(0, .L__assert_fail.has_indirect_call)
	.section	.AMDGPU.csdata,"",@progbits
; Kernel info:
; codeLenInByte = 64
; TotalNumSgprs: 36
; NumVgprs: 51
; ScratchSize: 64
; MemoryBound: 0
; FloatMode: 240
; IeeeMode: 1
; LDSByteSize: 0 bytes/workgroup (compile time only)
; SGPRBlocks: 0
; VGPRBlocks: 3
; NumSGPRsForWavesPerEU: 36
; NumVGPRsForWavesPerEU: 51
; NamedBarCnt: 0
; Occupancy: 16
; WaveLimiterHint : 1
; COMPUTE_PGM_RSRC2:SCRATCH_EN: 1
; COMPUTE_PGM_RSRC2:USER_SGPR: 2
; COMPUTE_PGM_RSRC2:TRAP_HANDLER: 0
; COMPUTE_PGM_RSRC2:TGID_X_EN: 1
; COMPUTE_PGM_RSRC2:TGID_Y_EN: 0
; COMPUTE_PGM_RSRC2:TGID_Z_EN: 0
; COMPUTE_PGM_RSRC2:TIDIG_COMP_CNT: 0
	.section	.text._Z17wvSplitKQ_hf_sml_I14__hip_bfloat16N3c1015Float8_e4m3fnuzELi64ELi2ELi16ELi16ELi2ELi1EEviiiPKT0_S5_PT_PKfS9_ii,"axG",@progbits,_Z17wvSplitKQ_hf_sml_I14__hip_bfloat16N3c1015Float8_e4m3fnuzELi64ELi2ELi16ELi16ELi2ELi1EEviiiPKT0_S5_PT_PKfS9_ii,comdat
	.protected	_Z17wvSplitKQ_hf_sml_I14__hip_bfloat16N3c1015Float8_e4m3fnuzELi64ELi2ELi16ELi16ELi2ELi1EEviiiPKT0_S5_PT_PKfS9_ii ; -- Begin function _Z17wvSplitKQ_hf_sml_I14__hip_bfloat16N3c1015Float8_e4m3fnuzELi64ELi2ELi16ELi16ELi2ELi1EEviiiPKT0_S5_PT_PKfS9_ii
	.globl	_Z17wvSplitKQ_hf_sml_I14__hip_bfloat16N3c1015Float8_e4m3fnuzELi64ELi2ELi16ELi16ELi2ELi1EEviiiPKT0_S5_PT_PKfS9_ii
	.p2align	8
	.type	_Z17wvSplitKQ_hf_sml_I14__hip_bfloat16N3c1015Float8_e4m3fnuzELi64ELi2ELi16ELi16ELi2ELi1EEviiiPKT0_S5_PT_PKfS9_ii,@function
_Z17wvSplitKQ_hf_sml_I14__hip_bfloat16N3c1015Float8_e4m3fnuzELi64ELi2ELi16ELi16ELi2ELi1EEviiiPKT0_S5_PT_PKfS9_ii: ; @_Z17wvSplitKQ_hf_sml_I14__hip_bfloat16N3c1015Float8_e4m3fnuzELi64ELi2ELi16ELi16ELi2ELi1EEviiiPKT0_S5_PT_PKfS9_ii
; %bb.0:
	s_get_pc_i64 s[2:3]
	s_add_nc_u64 s[2:3], s[2:3], __PRETTY_FUNCTION__._Z17wvSplitKQ_hf_sml_I14__hip_bfloat16N3c1015Float8_e4m3fnuzELi64ELi2ELi16ELi16ELi2ELi1EEviiiPKT0_S5_PT_PKfS9_ii@rel64+4
	s_delay_alu instid0(SALU_CYCLE_1)
	v_dual_mov_b32 v0, 0x5c1 :: v_dual_mov_b32 v1, s2
	v_mov_b32_e32 v2, s3
	s_add_nc_u64 s[8:9], s[0:1], 64
	s_get_pc_i64 s[0:1]
	s_add_nc_u64 s[0:1], s[0:1], __assert_fail@rel64+4
	s_mov_b32 s32, 0
	s_swap_pc_i64 s[30:31], s[0:1]
	.section	.rodata,"a",@progbits
	.p2align	6, 0x0
	.amdhsa_kernel _Z17wvSplitKQ_hf_sml_I14__hip_bfloat16N3c1015Float8_e4m3fnuzELi64ELi2ELi16ELi16ELi2ELi1EEviiiPKT0_S5_PT_PKfS9_ii
		.amdhsa_group_segment_fixed_size 0
		.amdhsa_private_segment_fixed_size 64
		.amdhsa_kernarg_size 320
		.amdhsa_user_sgpr_count 2
		.amdhsa_user_sgpr_dispatch_ptr 0
		.amdhsa_user_sgpr_queue_ptr 0
		.amdhsa_user_sgpr_kernarg_segment_ptr 1
		.amdhsa_user_sgpr_dispatch_id 0
		.amdhsa_user_sgpr_kernarg_preload_length 0
		.amdhsa_user_sgpr_kernarg_preload_offset 0
		.amdhsa_user_sgpr_private_segment_size 0
		.amdhsa_wavefront_size32 1
		.amdhsa_uses_dynamic_stack 0
		.amdhsa_enable_private_segment 1
		.amdhsa_system_sgpr_workgroup_id_x 1
		.amdhsa_system_sgpr_workgroup_id_y 0
		.amdhsa_system_sgpr_workgroup_id_z 0
		.amdhsa_system_sgpr_workgroup_info 0
		.amdhsa_system_vgpr_workitem_id 0
		.amdhsa_next_free_vgpr 51
		.amdhsa_next_free_sgpr 34
		.amdhsa_named_barrier_count 0
		.amdhsa_reserve_vcc 1
		.amdhsa_float_round_mode_32 0
		.amdhsa_float_round_mode_16_64 0
		.amdhsa_float_denorm_mode_32 3
		.amdhsa_float_denorm_mode_16_64 3
		.amdhsa_fp16_overflow 0
		.amdhsa_memory_ordered 1
		.amdhsa_forward_progress 1
		.amdhsa_inst_pref_size 1
		.amdhsa_round_robin_scheduling 0
		.amdhsa_exception_fp_ieee_invalid_op 0
		.amdhsa_exception_fp_denorm_src 0
		.amdhsa_exception_fp_ieee_div_zero 0
		.amdhsa_exception_fp_ieee_overflow 0
		.amdhsa_exception_fp_ieee_underflow 0
		.amdhsa_exception_fp_ieee_inexact 0
		.amdhsa_exception_int_div_zero 0
	.end_amdhsa_kernel
	.section	.text._Z17wvSplitKQ_hf_sml_I14__hip_bfloat16N3c1015Float8_e4m3fnuzELi64ELi2ELi16ELi16ELi2ELi1EEviiiPKT0_S5_PT_PKfS9_ii,"axG",@progbits,_Z17wvSplitKQ_hf_sml_I14__hip_bfloat16N3c1015Float8_e4m3fnuzELi64ELi2ELi16ELi16ELi2ELi1EEviiiPKT0_S5_PT_PKfS9_ii,comdat
.Lfunc_end58:
	.size	_Z17wvSplitKQ_hf_sml_I14__hip_bfloat16N3c1015Float8_e4m3fnuzELi64ELi2ELi16ELi16ELi2ELi1EEviiiPKT0_S5_PT_PKfS9_ii, .Lfunc_end58-_Z17wvSplitKQ_hf_sml_I14__hip_bfloat16N3c1015Float8_e4m3fnuzELi64ELi2ELi16ELi16ELi2ELi1EEviiiPKT0_S5_PT_PKfS9_ii
                                        ; -- End function
	.set _Z17wvSplitKQ_hf_sml_I14__hip_bfloat16N3c1015Float8_e4m3fnuzELi64ELi2ELi16ELi16ELi2ELi1EEviiiPKT0_S5_PT_PKfS9_ii.num_vgpr, max(3, .L__assert_fail.num_vgpr)
	.set _Z17wvSplitKQ_hf_sml_I14__hip_bfloat16N3c1015Float8_e4m3fnuzELi64ELi2ELi16ELi16ELi2ELi1EEviiiPKT0_S5_PT_PKfS9_ii.num_agpr, max(0, .L__assert_fail.num_agpr)
	.set _Z17wvSplitKQ_hf_sml_I14__hip_bfloat16N3c1015Float8_e4m3fnuzELi64ELi2ELi16ELi16ELi2ELi1EEviiiPKT0_S5_PT_PKfS9_ii.numbered_sgpr, max(33, .L__assert_fail.numbered_sgpr)
	.set _Z17wvSplitKQ_hf_sml_I14__hip_bfloat16N3c1015Float8_e4m3fnuzELi64ELi2ELi16ELi16ELi2ELi1EEviiiPKT0_S5_PT_PKfS9_ii.num_named_barrier, max(0, .L__assert_fail.num_named_barrier)
	.set _Z17wvSplitKQ_hf_sml_I14__hip_bfloat16N3c1015Float8_e4m3fnuzELi64ELi2ELi16ELi16ELi2ELi1EEviiiPKT0_S5_PT_PKfS9_ii.private_seg_size, 0+max(.L__assert_fail.private_seg_size)
	.set _Z17wvSplitKQ_hf_sml_I14__hip_bfloat16N3c1015Float8_e4m3fnuzELi64ELi2ELi16ELi16ELi2ELi1EEviiiPKT0_S5_PT_PKfS9_ii.uses_vcc, or(1, .L__assert_fail.uses_vcc)
	.set _Z17wvSplitKQ_hf_sml_I14__hip_bfloat16N3c1015Float8_e4m3fnuzELi64ELi2ELi16ELi16ELi2ELi1EEviiiPKT0_S5_PT_PKfS9_ii.uses_flat_scratch, or(0, .L__assert_fail.uses_flat_scratch)
	.set _Z17wvSplitKQ_hf_sml_I14__hip_bfloat16N3c1015Float8_e4m3fnuzELi64ELi2ELi16ELi16ELi2ELi1EEviiiPKT0_S5_PT_PKfS9_ii.has_dyn_sized_stack, or(0, .L__assert_fail.has_dyn_sized_stack)
	.set _Z17wvSplitKQ_hf_sml_I14__hip_bfloat16N3c1015Float8_e4m3fnuzELi64ELi2ELi16ELi16ELi2ELi1EEviiiPKT0_S5_PT_PKfS9_ii.has_recursion, or(0, .L__assert_fail.has_recursion)
	.set _Z17wvSplitKQ_hf_sml_I14__hip_bfloat16N3c1015Float8_e4m3fnuzELi64ELi2ELi16ELi16ELi2ELi1EEviiiPKT0_S5_PT_PKfS9_ii.has_indirect_call, or(0, .L__assert_fail.has_indirect_call)
	.section	.AMDGPU.csdata,"",@progbits
; Kernel info:
; codeLenInByte = 64
; TotalNumSgprs: 36
; NumVgprs: 51
; ScratchSize: 64
; MemoryBound: 0
; FloatMode: 240
; IeeeMode: 1
; LDSByteSize: 0 bytes/workgroup (compile time only)
; SGPRBlocks: 0
; VGPRBlocks: 3
; NumSGPRsForWavesPerEU: 36
; NumVGPRsForWavesPerEU: 51
; NamedBarCnt: 0
; Occupancy: 16
; WaveLimiterHint : 1
; COMPUTE_PGM_RSRC2:SCRATCH_EN: 1
; COMPUTE_PGM_RSRC2:USER_SGPR: 2
; COMPUTE_PGM_RSRC2:TRAP_HANDLER: 0
; COMPUTE_PGM_RSRC2:TGID_X_EN: 1
; COMPUTE_PGM_RSRC2:TGID_Y_EN: 0
; COMPUTE_PGM_RSRC2:TGID_Z_EN: 0
; COMPUTE_PGM_RSRC2:TIDIG_COMP_CNT: 0
	.section	.text._Z13wvSplitKQ_hf_I14__hip_bfloat16N3c1015Float8_e4m3fnuzELi64ELi2ELi16ELi16ELi2ELi1EEviiiPKT0_S5_PT_PKfS9_ii,"axG",@progbits,_Z13wvSplitKQ_hf_I14__hip_bfloat16N3c1015Float8_e4m3fnuzELi64ELi2ELi16ELi16ELi2ELi1EEviiiPKT0_S5_PT_PKfS9_ii,comdat
	.protected	_Z13wvSplitKQ_hf_I14__hip_bfloat16N3c1015Float8_e4m3fnuzELi64ELi2ELi16ELi16ELi2ELi1EEviiiPKT0_S5_PT_PKfS9_ii ; -- Begin function _Z13wvSplitKQ_hf_I14__hip_bfloat16N3c1015Float8_e4m3fnuzELi64ELi2ELi16ELi16ELi2ELi1EEviiiPKT0_S5_PT_PKfS9_ii
	.globl	_Z13wvSplitKQ_hf_I14__hip_bfloat16N3c1015Float8_e4m3fnuzELi64ELi2ELi16ELi16ELi2ELi1EEviiiPKT0_S5_PT_PKfS9_ii
	.p2align	8
	.type	_Z13wvSplitKQ_hf_I14__hip_bfloat16N3c1015Float8_e4m3fnuzELi64ELi2ELi16ELi16ELi2ELi1EEviiiPKT0_S5_PT_PKfS9_ii,@function
_Z13wvSplitKQ_hf_I14__hip_bfloat16N3c1015Float8_e4m3fnuzELi64ELi2ELi16ELi16ELi2ELi1EEviiiPKT0_S5_PT_PKfS9_ii: ; @_Z13wvSplitKQ_hf_I14__hip_bfloat16N3c1015Float8_e4m3fnuzELi64ELi2ELi16ELi16ELi2ELi1EEviiiPKT0_S5_PT_PKfS9_ii
; %bb.0:
	s_get_pc_i64 s[2:3]
	s_add_nc_u64 s[2:3], s[2:3], __PRETTY_FUNCTION__._Z13wvSplitKQ_hf_I14__hip_bfloat16N3c1015Float8_e4m3fnuzELi64ELi2ELi16ELi16ELi2ELi1EEviiiPKT0_S5_PT_PKfS9_ii@rel64+4
	s_delay_alu instid0(SALU_CYCLE_1)
	v_dual_mov_b32 v0, 0x66e :: v_dual_mov_b32 v1, s2
	v_mov_b32_e32 v2, s3
	s_add_nc_u64 s[8:9], s[0:1], 64
	s_get_pc_i64 s[0:1]
	s_add_nc_u64 s[0:1], s[0:1], __assert_fail@rel64+4
	s_mov_b32 s32, 0
	s_swap_pc_i64 s[30:31], s[0:1]
	.section	.rodata,"a",@progbits
	.p2align	6, 0x0
	.amdhsa_kernel _Z13wvSplitKQ_hf_I14__hip_bfloat16N3c1015Float8_e4m3fnuzELi64ELi2ELi16ELi16ELi2ELi1EEviiiPKT0_S5_PT_PKfS9_ii
		.amdhsa_group_segment_fixed_size 0
		.amdhsa_private_segment_fixed_size 64
		.amdhsa_kernarg_size 320
		.amdhsa_user_sgpr_count 2
		.amdhsa_user_sgpr_dispatch_ptr 0
		.amdhsa_user_sgpr_queue_ptr 0
		.amdhsa_user_sgpr_kernarg_segment_ptr 1
		.amdhsa_user_sgpr_dispatch_id 0
		.amdhsa_user_sgpr_kernarg_preload_length 0
		.amdhsa_user_sgpr_kernarg_preload_offset 0
		.amdhsa_user_sgpr_private_segment_size 0
		.amdhsa_wavefront_size32 1
		.amdhsa_uses_dynamic_stack 0
		.amdhsa_enable_private_segment 1
		.amdhsa_system_sgpr_workgroup_id_x 1
		.amdhsa_system_sgpr_workgroup_id_y 0
		.amdhsa_system_sgpr_workgroup_id_z 0
		.amdhsa_system_sgpr_workgroup_info 0
		.amdhsa_system_vgpr_workitem_id 0
		.amdhsa_next_free_vgpr 51
		.amdhsa_next_free_sgpr 34
		.amdhsa_named_barrier_count 0
		.amdhsa_reserve_vcc 1
		.amdhsa_float_round_mode_32 0
		.amdhsa_float_round_mode_16_64 0
		.amdhsa_float_denorm_mode_32 3
		.amdhsa_float_denorm_mode_16_64 3
		.amdhsa_fp16_overflow 0
		.amdhsa_memory_ordered 1
		.amdhsa_forward_progress 1
		.amdhsa_inst_pref_size 1
		.amdhsa_round_robin_scheduling 0
		.amdhsa_exception_fp_ieee_invalid_op 0
		.amdhsa_exception_fp_denorm_src 0
		.amdhsa_exception_fp_ieee_div_zero 0
		.amdhsa_exception_fp_ieee_overflow 0
		.amdhsa_exception_fp_ieee_underflow 0
		.amdhsa_exception_fp_ieee_inexact 0
		.amdhsa_exception_int_div_zero 0
	.end_amdhsa_kernel
	.section	.text._Z13wvSplitKQ_hf_I14__hip_bfloat16N3c1015Float8_e4m3fnuzELi64ELi2ELi16ELi16ELi2ELi1EEviiiPKT0_S5_PT_PKfS9_ii,"axG",@progbits,_Z13wvSplitKQ_hf_I14__hip_bfloat16N3c1015Float8_e4m3fnuzELi64ELi2ELi16ELi16ELi2ELi1EEviiiPKT0_S5_PT_PKfS9_ii,comdat
.Lfunc_end59:
	.size	_Z13wvSplitKQ_hf_I14__hip_bfloat16N3c1015Float8_e4m3fnuzELi64ELi2ELi16ELi16ELi2ELi1EEviiiPKT0_S5_PT_PKfS9_ii, .Lfunc_end59-_Z13wvSplitKQ_hf_I14__hip_bfloat16N3c1015Float8_e4m3fnuzELi64ELi2ELi16ELi16ELi2ELi1EEviiiPKT0_S5_PT_PKfS9_ii
                                        ; -- End function
	.set _Z13wvSplitKQ_hf_I14__hip_bfloat16N3c1015Float8_e4m3fnuzELi64ELi2ELi16ELi16ELi2ELi1EEviiiPKT0_S5_PT_PKfS9_ii.num_vgpr, max(3, .L__assert_fail.num_vgpr)
	.set _Z13wvSplitKQ_hf_I14__hip_bfloat16N3c1015Float8_e4m3fnuzELi64ELi2ELi16ELi16ELi2ELi1EEviiiPKT0_S5_PT_PKfS9_ii.num_agpr, max(0, .L__assert_fail.num_agpr)
	.set _Z13wvSplitKQ_hf_I14__hip_bfloat16N3c1015Float8_e4m3fnuzELi64ELi2ELi16ELi16ELi2ELi1EEviiiPKT0_S5_PT_PKfS9_ii.numbered_sgpr, max(33, .L__assert_fail.numbered_sgpr)
	.set _Z13wvSplitKQ_hf_I14__hip_bfloat16N3c1015Float8_e4m3fnuzELi64ELi2ELi16ELi16ELi2ELi1EEviiiPKT0_S5_PT_PKfS9_ii.num_named_barrier, max(0, .L__assert_fail.num_named_barrier)
	.set _Z13wvSplitKQ_hf_I14__hip_bfloat16N3c1015Float8_e4m3fnuzELi64ELi2ELi16ELi16ELi2ELi1EEviiiPKT0_S5_PT_PKfS9_ii.private_seg_size, 0+max(.L__assert_fail.private_seg_size)
	.set _Z13wvSplitKQ_hf_I14__hip_bfloat16N3c1015Float8_e4m3fnuzELi64ELi2ELi16ELi16ELi2ELi1EEviiiPKT0_S5_PT_PKfS9_ii.uses_vcc, or(1, .L__assert_fail.uses_vcc)
	.set _Z13wvSplitKQ_hf_I14__hip_bfloat16N3c1015Float8_e4m3fnuzELi64ELi2ELi16ELi16ELi2ELi1EEviiiPKT0_S5_PT_PKfS9_ii.uses_flat_scratch, or(0, .L__assert_fail.uses_flat_scratch)
	.set _Z13wvSplitKQ_hf_I14__hip_bfloat16N3c1015Float8_e4m3fnuzELi64ELi2ELi16ELi16ELi2ELi1EEviiiPKT0_S5_PT_PKfS9_ii.has_dyn_sized_stack, or(0, .L__assert_fail.has_dyn_sized_stack)
	.set _Z13wvSplitKQ_hf_I14__hip_bfloat16N3c1015Float8_e4m3fnuzELi64ELi2ELi16ELi16ELi2ELi1EEviiiPKT0_S5_PT_PKfS9_ii.has_recursion, or(0, .L__assert_fail.has_recursion)
	.set _Z13wvSplitKQ_hf_I14__hip_bfloat16N3c1015Float8_e4m3fnuzELi64ELi2ELi16ELi16ELi2ELi1EEviiiPKT0_S5_PT_PKfS9_ii.has_indirect_call, or(0, .L__assert_fail.has_indirect_call)
	.section	.AMDGPU.csdata,"",@progbits
; Kernel info:
; codeLenInByte = 64
; TotalNumSgprs: 36
; NumVgprs: 51
; ScratchSize: 64
; MemoryBound: 0
; FloatMode: 240
; IeeeMode: 1
; LDSByteSize: 0 bytes/workgroup (compile time only)
; SGPRBlocks: 0
; VGPRBlocks: 3
; NumSGPRsForWavesPerEU: 36
; NumVGPRsForWavesPerEU: 51
; NamedBarCnt: 0
; Occupancy: 16
; WaveLimiterHint : 1
; COMPUTE_PGM_RSRC2:SCRATCH_EN: 1
; COMPUTE_PGM_RSRC2:USER_SGPR: 2
; COMPUTE_PGM_RSRC2:TRAP_HANDLER: 0
; COMPUTE_PGM_RSRC2:TGID_X_EN: 1
; COMPUTE_PGM_RSRC2:TGID_Y_EN: 0
; COMPUTE_PGM_RSRC2:TGID_Z_EN: 0
; COMPUTE_PGM_RSRC2:TIDIG_COMP_CNT: 0
	.section	.text._Z17wvSplitKQ_hf_sml_I14__hip_bfloat16N3c1015Float8_e4m3fnuzELi64ELi2ELi16ELi16ELi2ELi2EEviiiPKT0_S5_PT_PKfS9_ii,"axG",@progbits,_Z17wvSplitKQ_hf_sml_I14__hip_bfloat16N3c1015Float8_e4m3fnuzELi64ELi2ELi16ELi16ELi2ELi2EEviiiPKT0_S5_PT_PKfS9_ii,comdat
	.protected	_Z17wvSplitKQ_hf_sml_I14__hip_bfloat16N3c1015Float8_e4m3fnuzELi64ELi2ELi16ELi16ELi2ELi2EEviiiPKT0_S5_PT_PKfS9_ii ; -- Begin function _Z17wvSplitKQ_hf_sml_I14__hip_bfloat16N3c1015Float8_e4m3fnuzELi64ELi2ELi16ELi16ELi2ELi2EEviiiPKT0_S5_PT_PKfS9_ii
	.globl	_Z17wvSplitKQ_hf_sml_I14__hip_bfloat16N3c1015Float8_e4m3fnuzELi64ELi2ELi16ELi16ELi2ELi2EEviiiPKT0_S5_PT_PKfS9_ii
	.p2align	8
	.type	_Z17wvSplitKQ_hf_sml_I14__hip_bfloat16N3c1015Float8_e4m3fnuzELi64ELi2ELi16ELi16ELi2ELi2EEviiiPKT0_S5_PT_PKfS9_ii,@function
_Z17wvSplitKQ_hf_sml_I14__hip_bfloat16N3c1015Float8_e4m3fnuzELi64ELi2ELi16ELi16ELi2ELi2EEviiiPKT0_S5_PT_PKfS9_ii: ; @_Z17wvSplitKQ_hf_sml_I14__hip_bfloat16N3c1015Float8_e4m3fnuzELi64ELi2ELi16ELi16ELi2ELi2EEviiiPKT0_S5_PT_PKfS9_ii
; %bb.0:
	s_get_pc_i64 s[2:3]
	s_add_nc_u64 s[2:3], s[2:3], __PRETTY_FUNCTION__._Z17wvSplitKQ_hf_sml_I14__hip_bfloat16N3c1015Float8_e4m3fnuzELi64ELi2ELi16ELi16ELi2ELi2EEviiiPKT0_S5_PT_PKfS9_ii@rel64+4
	s_delay_alu instid0(SALU_CYCLE_1)
	v_dual_mov_b32 v0, 0x5c1 :: v_dual_mov_b32 v1, s2
	v_mov_b32_e32 v2, s3
	s_add_nc_u64 s[8:9], s[0:1], 64
	s_get_pc_i64 s[0:1]
	s_add_nc_u64 s[0:1], s[0:1], __assert_fail@rel64+4
	s_mov_b32 s32, 0
	s_swap_pc_i64 s[30:31], s[0:1]
	.section	.rodata,"a",@progbits
	.p2align	6, 0x0
	.amdhsa_kernel _Z17wvSplitKQ_hf_sml_I14__hip_bfloat16N3c1015Float8_e4m3fnuzELi64ELi2ELi16ELi16ELi2ELi2EEviiiPKT0_S5_PT_PKfS9_ii
		.amdhsa_group_segment_fixed_size 0
		.amdhsa_private_segment_fixed_size 64
		.amdhsa_kernarg_size 320
		.amdhsa_user_sgpr_count 2
		.amdhsa_user_sgpr_dispatch_ptr 0
		.amdhsa_user_sgpr_queue_ptr 0
		.amdhsa_user_sgpr_kernarg_segment_ptr 1
		.amdhsa_user_sgpr_dispatch_id 0
		.amdhsa_user_sgpr_kernarg_preload_length 0
		.amdhsa_user_sgpr_kernarg_preload_offset 0
		.amdhsa_user_sgpr_private_segment_size 0
		.amdhsa_wavefront_size32 1
		.amdhsa_uses_dynamic_stack 0
		.amdhsa_enable_private_segment 1
		.amdhsa_system_sgpr_workgroup_id_x 1
		.amdhsa_system_sgpr_workgroup_id_y 0
		.amdhsa_system_sgpr_workgroup_id_z 0
		.amdhsa_system_sgpr_workgroup_info 0
		.amdhsa_system_vgpr_workitem_id 0
		.amdhsa_next_free_vgpr 51
		.amdhsa_next_free_sgpr 34
		.amdhsa_named_barrier_count 0
		.amdhsa_reserve_vcc 1
		.amdhsa_float_round_mode_32 0
		.amdhsa_float_round_mode_16_64 0
		.amdhsa_float_denorm_mode_32 3
		.amdhsa_float_denorm_mode_16_64 3
		.amdhsa_fp16_overflow 0
		.amdhsa_memory_ordered 1
		.amdhsa_forward_progress 1
		.amdhsa_inst_pref_size 1
		.amdhsa_round_robin_scheduling 0
		.amdhsa_exception_fp_ieee_invalid_op 0
		.amdhsa_exception_fp_denorm_src 0
		.amdhsa_exception_fp_ieee_div_zero 0
		.amdhsa_exception_fp_ieee_overflow 0
		.amdhsa_exception_fp_ieee_underflow 0
		.amdhsa_exception_fp_ieee_inexact 0
		.amdhsa_exception_int_div_zero 0
	.end_amdhsa_kernel
	.section	.text._Z17wvSplitKQ_hf_sml_I14__hip_bfloat16N3c1015Float8_e4m3fnuzELi64ELi2ELi16ELi16ELi2ELi2EEviiiPKT0_S5_PT_PKfS9_ii,"axG",@progbits,_Z17wvSplitKQ_hf_sml_I14__hip_bfloat16N3c1015Float8_e4m3fnuzELi64ELi2ELi16ELi16ELi2ELi2EEviiiPKT0_S5_PT_PKfS9_ii,comdat
.Lfunc_end60:
	.size	_Z17wvSplitKQ_hf_sml_I14__hip_bfloat16N3c1015Float8_e4m3fnuzELi64ELi2ELi16ELi16ELi2ELi2EEviiiPKT0_S5_PT_PKfS9_ii, .Lfunc_end60-_Z17wvSplitKQ_hf_sml_I14__hip_bfloat16N3c1015Float8_e4m3fnuzELi64ELi2ELi16ELi16ELi2ELi2EEviiiPKT0_S5_PT_PKfS9_ii
                                        ; -- End function
	.set _Z17wvSplitKQ_hf_sml_I14__hip_bfloat16N3c1015Float8_e4m3fnuzELi64ELi2ELi16ELi16ELi2ELi2EEviiiPKT0_S5_PT_PKfS9_ii.num_vgpr, max(3, .L__assert_fail.num_vgpr)
	.set _Z17wvSplitKQ_hf_sml_I14__hip_bfloat16N3c1015Float8_e4m3fnuzELi64ELi2ELi16ELi16ELi2ELi2EEviiiPKT0_S5_PT_PKfS9_ii.num_agpr, max(0, .L__assert_fail.num_agpr)
	.set _Z17wvSplitKQ_hf_sml_I14__hip_bfloat16N3c1015Float8_e4m3fnuzELi64ELi2ELi16ELi16ELi2ELi2EEviiiPKT0_S5_PT_PKfS9_ii.numbered_sgpr, max(33, .L__assert_fail.numbered_sgpr)
	.set _Z17wvSplitKQ_hf_sml_I14__hip_bfloat16N3c1015Float8_e4m3fnuzELi64ELi2ELi16ELi16ELi2ELi2EEviiiPKT0_S5_PT_PKfS9_ii.num_named_barrier, max(0, .L__assert_fail.num_named_barrier)
	.set _Z17wvSplitKQ_hf_sml_I14__hip_bfloat16N3c1015Float8_e4m3fnuzELi64ELi2ELi16ELi16ELi2ELi2EEviiiPKT0_S5_PT_PKfS9_ii.private_seg_size, 0+max(.L__assert_fail.private_seg_size)
	.set _Z17wvSplitKQ_hf_sml_I14__hip_bfloat16N3c1015Float8_e4m3fnuzELi64ELi2ELi16ELi16ELi2ELi2EEviiiPKT0_S5_PT_PKfS9_ii.uses_vcc, or(1, .L__assert_fail.uses_vcc)
	.set _Z17wvSplitKQ_hf_sml_I14__hip_bfloat16N3c1015Float8_e4m3fnuzELi64ELi2ELi16ELi16ELi2ELi2EEviiiPKT0_S5_PT_PKfS9_ii.uses_flat_scratch, or(0, .L__assert_fail.uses_flat_scratch)
	.set _Z17wvSplitKQ_hf_sml_I14__hip_bfloat16N3c1015Float8_e4m3fnuzELi64ELi2ELi16ELi16ELi2ELi2EEviiiPKT0_S5_PT_PKfS9_ii.has_dyn_sized_stack, or(0, .L__assert_fail.has_dyn_sized_stack)
	.set _Z17wvSplitKQ_hf_sml_I14__hip_bfloat16N3c1015Float8_e4m3fnuzELi64ELi2ELi16ELi16ELi2ELi2EEviiiPKT0_S5_PT_PKfS9_ii.has_recursion, or(0, .L__assert_fail.has_recursion)
	.set _Z17wvSplitKQ_hf_sml_I14__hip_bfloat16N3c1015Float8_e4m3fnuzELi64ELi2ELi16ELi16ELi2ELi2EEviiiPKT0_S5_PT_PKfS9_ii.has_indirect_call, or(0, .L__assert_fail.has_indirect_call)
	.section	.AMDGPU.csdata,"",@progbits
; Kernel info:
; codeLenInByte = 64
; TotalNumSgprs: 36
; NumVgprs: 51
; ScratchSize: 64
; MemoryBound: 0
; FloatMode: 240
; IeeeMode: 1
; LDSByteSize: 0 bytes/workgroup (compile time only)
; SGPRBlocks: 0
; VGPRBlocks: 3
; NumSGPRsForWavesPerEU: 36
; NumVGPRsForWavesPerEU: 51
; NamedBarCnt: 0
; Occupancy: 16
; WaveLimiterHint : 1
; COMPUTE_PGM_RSRC2:SCRATCH_EN: 1
; COMPUTE_PGM_RSRC2:USER_SGPR: 2
; COMPUTE_PGM_RSRC2:TRAP_HANDLER: 0
; COMPUTE_PGM_RSRC2:TGID_X_EN: 1
; COMPUTE_PGM_RSRC2:TGID_Y_EN: 0
; COMPUTE_PGM_RSRC2:TGID_Z_EN: 0
; COMPUTE_PGM_RSRC2:TIDIG_COMP_CNT: 0
	.section	.text._Z13wvSplitKQ_hf_I14__hip_bfloat16N3c1015Float8_e4m3fnuzELi64ELi2ELi16ELi16ELi2ELi2EEviiiPKT0_S5_PT_PKfS9_ii,"axG",@progbits,_Z13wvSplitKQ_hf_I14__hip_bfloat16N3c1015Float8_e4m3fnuzELi64ELi2ELi16ELi16ELi2ELi2EEviiiPKT0_S5_PT_PKfS9_ii,comdat
	.protected	_Z13wvSplitKQ_hf_I14__hip_bfloat16N3c1015Float8_e4m3fnuzELi64ELi2ELi16ELi16ELi2ELi2EEviiiPKT0_S5_PT_PKfS9_ii ; -- Begin function _Z13wvSplitKQ_hf_I14__hip_bfloat16N3c1015Float8_e4m3fnuzELi64ELi2ELi16ELi16ELi2ELi2EEviiiPKT0_S5_PT_PKfS9_ii
	.globl	_Z13wvSplitKQ_hf_I14__hip_bfloat16N3c1015Float8_e4m3fnuzELi64ELi2ELi16ELi16ELi2ELi2EEviiiPKT0_S5_PT_PKfS9_ii
	.p2align	8
	.type	_Z13wvSplitKQ_hf_I14__hip_bfloat16N3c1015Float8_e4m3fnuzELi64ELi2ELi16ELi16ELi2ELi2EEviiiPKT0_S5_PT_PKfS9_ii,@function
_Z13wvSplitKQ_hf_I14__hip_bfloat16N3c1015Float8_e4m3fnuzELi64ELi2ELi16ELi16ELi2ELi2EEviiiPKT0_S5_PT_PKfS9_ii: ; @_Z13wvSplitKQ_hf_I14__hip_bfloat16N3c1015Float8_e4m3fnuzELi64ELi2ELi16ELi16ELi2ELi2EEviiiPKT0_S5_PT_PKfS9_ii
; %bb.0:
	s_get_pc_i64 s[2:3]
	s_add_nc_u64 s[2:3], s[2:3], __PRETTY_FUNCTION__._Z13wvSplitKQ_hf_I14__hip_bfloat16N3c1015Float8_e4m3fnuzELi64ELi2ELi16ELi16ELi2ELi2EEviiiPKT0_S5_PT_PKfS9_ii@rel64+4
	s_delay_alu instid0(SALU_CYCLE_1)
	v_dual_mov_b32 v0, 0x66e :: v_dual_mov_b32 v1, s2
	v_mov_b32_e32 v2, s3
	s_add_nc_u64 s[8:9], s[0:1], 64
	s_get_pc_i64 s[0:1]
	s_add_nc_u64 s[0:1], s[0:1], __assert_fail@rel64+4
	s_mov_b32 s32, 0
	s_swap_pc_i64 s[30:31], s[0:1]
	.section	.rodata,"a",@progbits
	.p2align	6, 0x0
	.amdhsa_kernel _Z13wvSplitKQ_hf_I14__hip_bfloat16N3c1015Float8_e4m3fnuzELi64ELi2ELi16ELi16ELi2ELi2EEviiiPKT0_S5_PT_PKfS9_ii
		.amdhsa_group_segment_fixed_size 0
		.amdhsa_private_segment_fixed_size 64
		.amdhsa_kernarg_size 320
		.amdhsa_user_sgpr_count 2
		.amdhsa_user_sgpr_dispatch_ptr 0
		.amdhsa_user_sgpr_queue_ptr 0
		.amdhsa_user_sgpr_kernarg_segment_ptr 1
		.amdhsa_user_sgpr_dispatch_id 0
		.amdhsa_user_sgpr_kernarg_preload_length 0
		.amdhsa_user_sgpr_kernarg_preload_offset 0
		.amdhsa_user_sgpr_private_segment_size 0
		.amdhsa_wavefront_size32 1
		.amdhsa_uses_dynamic_stack 0
		.amdhsa_enable_private_segment 1
		.amdhsa_system_sgpr_workgroup_id_x 1
		.amdhsa_system_sgpr_workgroup_id_y 0
		.amdhsa_system_sgpr_workgroup_id_z 0
		.amdhsa_system_sgpr_workgroup_info 0
		.amdhsa_system_vgpr_workitem_id 0
		.amdhsa_next_free_vgpr 51
		.amdhsa_next_free_sgpr 34
		.amdhsa_named_barrier_count 0
		.amdhsa_reserve_vcc 1
		.amdhsa_float_round_mode_32 0
		.amdhsa_float_round_mode_16_64 0
		.amdhsa_float_denorm_mode_32 3
		.amdhsa_float_denorm_mode_16_64 3
		.amdhsa_fp16_overflow 0
		.amdhsa_memory_ordered 1
		.amdhsa_forward_progress 1
		.amdhsa_inst_pref_size 1
		.amdhsa_round_robin_scheduling 0
		.amdhsa_exception_fp_ieee_invalid_op 0
		.amdhsa_exception_fp_denorm_src 0
		.amdhsa_exception_fp_ieee_div_zero 0
		.amdhsa_exception_fp_ieee_overflow 0
		.amdhsa_exception_fp_ieee_underflow 0
		.amdhsa_exception_fp_ieee_inexact 0
		.amdhsa_exception_int_div_zero 0
	.end_amdhsa_kernel
	.section	.text._Z13wvSplitKQ_hf_I14__hip_bfloat16N3c1015Float8_e4m3fnuzELi64ELi2ELi16ELi16ELi2ELi2EEviiiPKT0_S5_PT_PKfS9_ii,"axG",@progbits,_Z13wvSplitKQ_hf_I14__hip_bfloat16N3c1015Float8_e4m3fnuzELi64ELi2ELi16ELi16ELi2ELi2EEviiiPKT0_S5_PT_PKfS9_ii,comdat
.Lfunc_end61:
	.size	_Z13wvSplitKQ_hf_I14__hip_bfloat16N3c1015Float8_e4m3fnuzELi64ELi2ELi16ELi16ELi2ELi2EEviiiPKT0_S5_PT_PKfS9_ii, .Lfunc_end61-_Z13wvSplitKQ_hf_I14__hip_bfloat16N3c1015Float8_e4m3fnuzELi64ELi2ELi16ELi16ELi2ELi2EEviiiPKT0_S5_PT_PKfS9_ii
                                        ; -- End function
	.set _Z13wvSplitKQ_hf_I14__hip_bfloat16N3c1015Float8_e4m3fnuzELi64ELi2ELi16ELi16ELi2ELi2EEviiiPKT0_S5_PT_PKfS9_ii.num_vgpr, max(3, .L__assert_fail.num_vgpr)
	.set _Z13wvSplitKQ_hf_I14__hip_bfloat16N3c1015Float8_e4m3fnuzELi64ELi2ELi16ELi16ELi2ELi2EEviiiPKT0_S5_PT_PKfS9_ii.num_agpr, max(0, .L__assert_fail.num_agpr)
	.set _Z13wvSplitKQ_hf_I14__hip_bfloat16N3c1015Float8_e4m3fnuzELi64ELi2ELi16ELi16ELi2ELi2EEviiiPKT0_S5_PT_PKfS9_ii.numbered_sgpr, max(33, .L__assert_fail.numbered_sgpr)
	.set _Z13wvSplitKQ_hf_I14__hip_bfloat16N3c1015Float8_e4m3fnuzELi64ELi2ELi16ELi16ELi2ELi2EEviiiPKT0_S5_PT_PKfS9_ii.num_named_barrier, max(0, .L__assert_fail.num_named_barrier)
	.set _Z13wvSplitKQ_hf_I14__hip_bfloat16N3c1015Float8_e4m3fnuzELi64ELi2ELi16ELi16ELi2ELi2EEviiiPKT0_S5_PT_PKfS9_ii.private_seg_size, 0+max(.L__assert_fail.private_seg_size)
	.set _Z13wvSplitKQ_hf_I14__hip_bfloat16N3c1015Float8_e4m3fnuzELi64ELi2ELi16ELi16ELi2ELi2EEviiiPKT0_S5_PT_PKfS9_ii.uses_vcc, or(1, .L__assert_fail.uses_vcc)
	.set _Z13wvSplitKQ_hf_I14__hip_bfloat16N3c1015Float8_e4m3fnuzELi64ELi2ELi16ELi16ELi2ELi2EEviiiPKT0_S5_PT_PKfS9_ii.uses_flat_scratch, or(0, .L__assert_fail.uses_flat_scratch)
	.set _Z13wvSplitKQ_hf_I14__hip_bfloat16N3c1015Float8_e4m3fnuzELi64ELi2ELi16ELi16ELi2ELi2EEviiiPKT0_S5_PT_PKfS9_ii.has_dyn_sized_stack, or(0, .L__assert_fail.has_dyn_sized_stack)
	.set _Z13wvSplitKQ_hf_I14__hip_bfloat16N3c1015Float8_e4m3fnuzELi64ELi2ELi16ELi16ELi2ELi2EEviiiPKT0_S5_PT_PKfS9_ii.has_recursion, or(0, .L__assert_fail.has_recursion)
	.set _Z13wvSplitKQ_hf_I14__hip_bfloat16N3c1015Float8_e4m3fnuzELi64ELi2ELi16ELi16ELi2ELi2EEviiiPKT0_S5_PT_PKfS9_ii.has_indirect_call, or(0, .L__assert_fail.has_indirect_call)
	.section	.AMDGPU.csdata,"",@progbits
; Kernel info:
; codeLenInByte = 64
; TotalNumSgprs: 36
; NumVgprs: 51
; ScratchSize: 64
; MemoryBound: 0
; FloatMode: 240
; IeeeMode: 1
; LDSByteSize: 0 bytes/workgroup (compile time only)
; SGPRBlocks: 0
; VGPRBlocks: 3
; NumSGPRsForWavesPerEU: 36
; NumVGPRsForWavesPerEU: 51
; NamedBarCnt: 0
; Occupancy: 16
; WaveLimiterHint : 1
; COMPUTE_PGM_RSRC2:SCRATCH_EN: 1
; COMPUTE_PGM_RSRC2:USER_SGPR: 2
; COMPUTE_PGM_RSRC2:TRAP_HANDLER: 0
; COMPUTE_PGM_RSRC2:TGID_X_EN: 1
; COMPUTE_PGM_RSRC2:TGID_Y_EN: 0
; COMPUTE_PGM_RSRC2:TGID_Z_EN: 0
; COMPUTE_PGM_RSRC2:TIDIG_COMP_CNT: 0
	.section	.text._Z17wvSplitKQ_hf_sml_I14__hip_bfloat16N3c1015Float8_e4m3fnuzELi64ELi4ELi16ELi16ELi1ELi3EEviiiPKT0_S5_PT_PKfS9_ii,"axG",@progbits,_Z17wvSplitKQ_hf_sml_I14__hip_bfloat16N3c1015Float8_e4m3fnuzELi64ELi4ELi16ELi16ELi1ELi3EEviiiPKT0_S5_PT_PKfS9_ii,comdat
	.protected	_Z17wvSplitKQ_hf_sml_I14__hip_bfloat16N3c1015Float8_e4m3fnuzELi64ELi4ELi16ELi16ELi1ELi3EEviiiPKT0_S5_PT_PKfS9_ii ; -- Begin function _Z17wvSplitKQ_hf_sml_I14__hip_bfloat16N3c1015Float8_e4m3fnuzELi64ELi4ELi16ELi16ELi1ELi3EEviiiPKT0_S5_PT_PKfS9_ii
	.globl	_Z17wvSplitKQ_hf_sml_I14__hip_bfloat16N3c1015Float8_e4m3fnuzELi64ELi4ELi16ELi16ELi1ELi3EEviiiPKT0_S5_PT_PKfS9_ii
	.p2align	8
	.type	_Z17wvSplitKQ_hf_sml_I14__hip_bfloat16N3c1015Float8_e4m3fnuzELi64ELi4ELi16ELi16ELi1ELi3EEviiiPKT0_S5_PT_PKfS9_ii,@function
_Z17wvSplitKQ_hf_sml_I14__hip_bfloat16N3c1015Float8_e4m3fnuzELi64ELi4ELi16ELi16ELi1ELi3EEviiiPKT0_S5_PT_PKfS9_ii: ; @_Z17wvSplitKQ_hf_sml_I14__hip_bfloat16N3c1015Float8_e4m3fnuzELi64ELi4ELi16ELi16ELi1ELi3EEviiiPKT0_S5_PT_PKfS9_ii
; %bb.0:
	s_get_pc_i64 s[2:3]
	s_add_nc_u64 s[2:3], s[2:3], __PRETTY_FUNCTION__._Z17wvSplitKQ_hf_sml_I14__hip_bfloat16N3c1015Float8_e4m3fnuzELi64ELi4ELi16ELi16ELi1ELi3EEviiiPKT0_S5_PT_PKfS9_ii@rel64+4
	s_delay_alu instid0(SALU_CYCLE_1)
	v_dual_mov_b32 v0, 0x5c1 :: v_dual_mov_b32 v1, s2
	v_mov_b32_e32 v2, s3
	s_add_nc_u64 s[8:9], s[0:1], 64
	s_get_pc_i64 s[0:1]
	s_add_nc_u64 s[0:1], s[0:1], __assert_fail@rel64+4
	s_mov_b32 s32, 0
	s_swap_pc_i64 s[30:31], s[0:1]
	.section	.rodata,"a",@progbits
	.p2align	6, 0x0
	.amdhsa_kernel _Z17wvSplitKQ_hf_sml_I14__hip_bfloat16N3c1015Float8_e4m3fnuzELi64ELi4ELi16ELi16ELi1ELi3EEviiiPKT0_S5_PT_PKfS9_ii
		.amdhsa_group_segment_fixed_size 0
		.amdhsa_private_segment_fixed_size 64
		.amdhsa_kernarg_size 320
		.amdhsa_user_sgpr_count 2
		.amdhsa_user_sgpr_dispatch_ptr 0
		.amdhsa_user_sgpr_queue_ptr 0
		.amdhsa_user_sgpr_kernarg_segment_ptr 1
		.amdhsa_user_sgpr_dispatch_id 0
		.amdhsa_user_sgpr_kernarg_preload_length 0
		.amdhsa_user_sgpr_kernarg_preload_offset 0
		.amdhsa_user_sgpr_private_segment_size 0
		.amdhsa_wavefront_size32 1
		.amdhsa_uses_dynamic_stack 0
		.amdhsa_enable_private_segment 1
		.amdhsa_system_sgpr_workgroup_id_x 1
		.amdhsa_system_sgpr_workgroup_id_y 0
		.amdhsa_system_sgpr_workgroup_id_z 0
		.amdhsa_system_sgpr_workgroup_info 0
		.amdhsa_system_vgpr_workitem_id 0
		.amdhsa_next_free_vgpr 51
		.amdhsa_next_free_sgpr 34
		.amdhsa_named_barrier_count 0
		.amdhsa_reserve_vcc 1
		.amdhsa_float_round_mode_32 0
		.amdhsa_float_round_mode_16_64 0
		.amdhsa_float_denorm_mode_32 3
		.amdhsa_float_denorm_mode_16_64 3
		.amdhsa_fp16_overflow 0
		.amdhsa_memory_ordered 1
		.amdhsa_forward_progress 1
		.amdhsa_inst_pref_size 1
		.amdhsa_round_robin_scheduling 0
		.amdhsa_exception_fp_ieee_invalid_op 0
		.amdhsa_exception_fp_denorm_src 0
		.amdhsa_exception_fp_ieee_div_zero 0
		.amdhsa_exception_fp_ieee_overflow 0
		.amdhsa_exception_fp_ieee_underflow 0
		.amdhsa_exception_fp_ieee_inexact 0
		.amdhsa_exception_int_div_zero 0
	.end_amdhsa_kernel
	.section	.text._Z17wvSplitKQ_hf_sml_I14__hip_bfloat16N3c1015Float8_e4m3fnuzELi64ELi4ELi16ELi16ELi1ELi3EEviiiPKT0_S5_PT_PKfS9_ii,"axG",@progbits,_Z17wvSplitKQ_hf_sml_I14__hip_bfloat16N3c1015Float8_e4m3fnuzELi64ELi4ELi16ELi16ELi1ELi3EEviiiPKT0_S5_PT_PKfS9_ii,comdat
.Lfunc_end62:
	.size	_Z17wvSplitKQ_hf_sml_I14__hip_bfloat16N3c1015Float8_e4m3fnuzELi64ELi4ELi16ELi16ELi1ELi3EEviiiPKT0_S5_PT_PKfS9_ii, .Lfunc_end62-_Z17wvSplitKQ_hf_sml_I14__hip_bfloat16N3c1015Float8_e4m3fnuzELi64ELi4ELi16ELi16ELi1ELi3EEviiiPKT0_S5_PT_PKfS9_ii
                                        ; -- End function
	.set _Z17wvSplitKQ_hf_sml_I14__hip_bfloat16N3c1015Float8_e4m3fnuzELi64ELi4ELi16ELi16ELi1ELi3EEviiiPKT0_S5_PT_PKfS9_ii.num_vgpr, max(3, .L__assert_fail.num_vgpr)
	.set _Z17wvSplitKQ_hf_sml_I14__hip_bfloat16N3c1015Float8_e4m3fnuzELi64ELi4ELi16ELi16ELi1ELi3EEviiiPKT0_S5_PT_PKfS9_ii.num_agpr, max(0, .L__assert_fail.num_agpr)
	.set _Z17wvSplitKQ_hf_sml_I14__hip_bfloat16N3c1015Float8_e4m3fnuzELi64ELi4ELi16ELi16ELi1ELi3EEviiiPKT0_S5_PT_PKfS9_ii.numbered_sgpr, max(33, .L__assert_fail.numbered_sgpr)
	.set _Z17wvSplitKQ_hf_sml_I14__hip_bfloat16N3c1015Float8_e4m3fnuzELi64ELi4ELi16ELi16ELi1ELi3EEviiiPKT0_S5_PT_PKfS9_ii.num_named_barrier, max(0, .L__assert_fail.num_named_barrier)
	.set _Z17wvSplitKQ_hf_sml_I14__hip_bfloat16N3c1015Float8_e4m3fnuzELi64ELi4ELi16ELi16ELi1ELi3EEviiiPKT0_S5_PT_PKfS9_ii.private_seg_size, 0+max(.L__assert_fail.private_seg_size)
	.set _Z17wvSplitKQ_hf_sml_I14__hip_bfloat16N3c1015Float8_e4m3fnuzELi64ELi4ELi16ELi16ELi1ELi3EEviiiPKT0_S5_PT_PKfS9_ii.uses_vcc, or(1, .L__assert_fail.uses_vcc)
	.set _Z17wvSplitKQ_hf_sml_I14__hip_bfloat16N3c1015Float8_e4m3fnuzELi64ELi4ELi16ELi16ELi1ELi3EEviiiPKT0_S5_PT_PKfS9_ii.uses_flat_scratch, or(0, .L__assert_fail.uses_flat_scratch)
	.set _Z17wvSplitKQ_hf_sml_I14__hip_bfloat16N3c1015Float8_e4m3fnuzELi64ELi4ELi16ELi16ELi1ELi3EEviiiPKT0_S5_PT_PKfS9_ii.has_dyn_sized_stack, or(0, .L__assert_fail.has_dyn_sized_stack)
	.set _Z17wvSplitKQ_hf_sml_I14__hip_bfloat16N3c1015Float8_e4m3fnuzELi64ELi4ELi16ELi16ELi1ELi3EEviiiPKT0_S5_PT_PKfS9_ii.has_recursion, or(0, .L__assert_fail.has_recursion)
	.set _Z17wvSplitKQ_hf_sml_I14__hip_bfloat16N3c1015Float8_e4m3fnuzELi64ELi4ELi16ELi16ELi1ELi3EEviiiPKT0_S5_PT_PKfS9_ii.has_indirect_call, or(0, .L__assert_fail.has_indirect_call)
	.section	.AMDGPU.csdata,"",@progbits
; Kernel info:
; codeLenInByte = 64
; TotalNumSgprs: 36
; NumVgprs: 51
; ScratchSize: 64
; MemoryBound: 0
; FloatMode: 240
; IeeeMode: 1
; LDSByteSize: 0 bytes/workgroup (compile time only)
; SGPRBlocks: 0
; VGPRBlocks: 3
; NumSGPRsForWavesPerEU: 36
; NumVGPRsForWavesPerEU: 51
; NamedBarCnt: 0
; Occupancy: 16
; WaveLimiterHint : 1
; COMPUTE_PGM_RSRC2:SCRATCH_EN: 1
; COMPUTE_PGM_RSRC2:USER_SGPR: 2
; COMPUTE_PGM_RSRC2:TRAP_HANDLER: 0
; COMPUTE_PGM_RSRC2:TGID_X_EN: 1
; COMPUTE_PGM_RSRC2:TGID_Y_EN: 0
; COMPUTE_PGM_RSRC2:TGID_Z_EN: 0
; COMPUTE_PGM_RSRC2:TIDIG_COMP_CNT: 0
	.section	.text._Z13wvSplitKQ_hf_I14__hip_bfloat16N3c1015Float8_e4m3fnuzELi64ELi7ELi16ELi16ELi1ELi3EEviiiPKT0_S5_PT_PKfS9_ii,"axG",@progbits,_Z13wvSplitKQ_hf_I14__hip_bfloat16N3c1015Float8_e4m3fnuzELi64ELi7ELi16ELi16ELi1ELi3EEviiiPKT0_S5_PT_PKfS9_ii,comdat
	.protected	_Z13wvSplitKQ_hf_I14__hip_bfloat16N3c1015Float8_e4m3fnuzELi64ELi7ELi16ELi16ELi1ELi3EEviiiPKT0_S5_PT_PKfS9_ii ; -- Begin function _Z13wvSplitKQ_hf_I14__hip_bfloat16N3c1015Float8_e4m3fnuzELi64ELi7ELi16ELi16ELi1ELi3EEviiiPKT0_S5_PT_PKfS9_ii
	.globl	_Z13wvSplitKQ_hf_I14__hip_bfloat16N3c1015Float8_e4m3fnuzELi64ELi7ELi16ELi16ELi1ELi3EEviiiPKT0_S5_PT_PKfS9_ii
	.p2align	8
	.type	_Z13wvSplitKQ_hf_I14__hip_bfloat16N3c1015Float8_e4m3fnuzELi64ELi7ELi16ELi16ELi1ELi3EEviiiPKT0_S5_PT_PKfS9_ii,@function
_Z13wvSplitKQ_hf_I14__hip_bfloat16N3c1015Float8_e4m3fnuzELi64ELi7ELi16ELi16ELi1ELi3EEviiiPKT0_S5_PT_PKfS9_ii: ; @_Z13wvSplitKQ_hf_I14__hip_bfloat16N3c1015Float8_e4m3fnuzELi64ELi7ELi16ELi16ELi1ELi3EEviiiPKT0_S5_PT_PKfS9_ii
; %bb.0:
	s_get_pc_i64 s[2:3]
	s_add_nc_u64 s[2:3], s[2:3], __PRETTY_FUNCTION__._Z13wvSplitKQ_hf_I14__hip_bfloat16N3c1015Float8_e4m3fnuzELi64ELi7ELi16ELi16ELi1ELi3EEviiiPKT0_S5_PT_PKfS9_ii@rel64+4
	s_delay_alu instid0(SALU_CYCLE_1)
	v_dual_mov_b32 v0, 0x66e :: v_dual_mov_b32 v1, s2
	v_mov_b32_e32 v2, s3
	s_add_nc_u64 s[8:9], s[0:1], 64
	s_get_pc_i64 s[0:1]
	s_add_nc_u64 s[0:1], s[0:1], __assert_fail@rel64+4
	s_mov_b32 s32, 0
	s_swap_pc_i64 s[30:31], s[0:1]
	.section	.rodata,"a",@progbits
	.p2align	6, 0x0
	.amdhsa_kernel _Z13wvSplitKQ_hf_I14__hip_bfloat16N3c1015Float8_e4m3fnuzELi64ELi7ELi16ELi16ELi1ELi3EEviiiPKT0_S5_PT_PKfS9_ii
		.amdhsa_group_segment_fixed_size 0
		.amdhsa_private_segment_fixed_size 64
		.amdhsa_kernarg_size 320
		.amdhsa_user_sgpr_count 2
		.amdhsa_user_sgpr_dispatch_ptr 0
		.amdhsa_user_sgpr_queue_ptr 0
		.amdhsa_user_sgpr_kernarg_segment_ptr 1
		.amdhsa_user_sgpr_dispatch_id 0
		.amdhsa_user_sgpr_kernarg_preload_length 0
		.amdhsa_user_sgpr_kernarg_preload_offset 0
		.amdhsa_user_sgpr_private_segment_size 0
		.amdhsa_wavefront_size32 1
		.amdhsa_uses_dynamic_stack 0
		.amdhsa_enable_private_segment 1
		.amdhsa_system_sgpr_workgroup_id_x 1
		.amdhsa_system_sgpr_workgroup_id_y 0
		.amdhsa_system_sgpr_workgroup_id_z 0
		.amdhsa_system_sgpr_workgroup_info 0
		.amdhsa_system_vgpr_workitem_id 0
		.amdhsa_next_free_vgpr 51
		.amdhsa_next_free_sgpr 34
		.amdhsa_named_barrier_count 0
		.amdhsa_reserve_vcc 1
		.amdhsa_float_round_mode_32 0
		.amdhsa_float_round_mode_16_64 0
		.amdhsa_float_denorm_mode_32 3
		.amdhsa_float_denorm_mode_16_64 3
		.amdhsa_fp16_overflow 0
		.amdhsa_memory_ordered 1
		.amdhsa_forward_progress 1
		.amdhsa_inst_pref_size 1
		.amdhsa_round_robin_scheduling 0
		.amdhsa_exception_fp_ieee_invalid_op 0
		.amdhsa_exception_fp_denorm_src 0
		.amdhsa_exception_fp_ieee_div_zero 0
		.amdhsa_exception_fp_ieee_overflow 0
		.amdhsa_exception_fp_ieee_underflow 0
		.amdhsa_exception_fp_ieee_inexact 0
		.amdhsa_exception_int_div_zero 0
	.end_amdhsa_kernel
	.section	.text._Z13wvSplitKQ_hf_I14__hip_bfloat16N3c1015Float8_e4m3fnuzELi64ELi7ELi16ELi16ELi1ELi3EEviiiPKT0_S5_PT_PKfS9_ii,"axG",@progbits,_Z13wvSplitKQ_hf_I14__hip_bfloat16N3c1015Float8_e4m3fnuzELi64ELi7ELi16ELi16ELi1ELi3EEviiiPKT0_S5_PT_PKfS9_ii,comdat
.Lfunc_end63:
	.size	_Z13wvSplitKQ_hf_I14__hip_bfloat16N3c1015Float8_e4m3fnuzELi64ELi7ELi16ELi16ELi1ELi3EEviiiPKT0_S5_PT_PKfS9_ii, .Lfunc_end63-_Z13wvSplitKQ_hf_I14__hip_bfloat16N3c1015Float8_e4m3fnuzELi64ELi7ELi16ELi16ELi1ELi3EEviiiPKT0_S5_PT_PKfS9_ii
                                        ; -- End function
	.set _Z13wvSplitKQ_hf_I14__hip_bfloat16N3c1015Float8_e4m3fnuzELi64ELi7ELi16ELi16ELi1ELi3EEviiiPKT0_S5_PT_PKfS9_ii.num_vgpr, max(3, .L__assert_fail.num_vgpr)
	.set _Z13wvSplitKQ_hf_I14__hip_bfloat16N3c1015Float8_e4m3fnuzELi64ELi7ELi16ELi16ELi1ELi3EEviiiPKT0_S5_PT_PKfS9_ii.num_agpr, max(0, .L__assert_fail.num_agpr)
	.set _Z13wvSplitKQ_hf_I14__hip_bfloat16N3c1015Float8_e4m3fnuzELi64ELi7ELi16ELi16ELi1ELi3EEviiiPKT0_S5_PT_PKfS9_ii.numbered_sgpr, max(33, .L__assert_fail.numbered_sgpr)
	.set _Z13wvSplitKQ_hf_I14__hip_bfloat16N3c1015Float8_e4m3fnuzELi64ELi7ELi16ELi16ELi1ELi3EEviiiPKT0_S5_PT_PKfS9_ii.num_named_barrier, max(0, .L__assert_fail.num_named_barrier)
	.set _Z13wvSplitKQ_hf_I14__hip_bfloat16N3c1015Float8_e4m3fnuzELi64ELi7ELi16ELi16ELi1ELi3EEviiiPKT0_S5_PT_PKfS9_ii.private_seg_size, 0+max(.L__assert_fail.private_seg_size)
	.set _Z13wvSplitKQ_hf_I14__hip_bfloat16N3c1015Float8_e4m3fnuzELi64ELi7ELi16ELi16ELi1ELi3EEviiiPKT0_S5_PT_PKfS9_ii.uses_vcc, or(1, .L__assert_fail.uses_vcc)
	.set _Z13wvSplitKQ_hf_I14__hip_bfloat16N3c1015Float8_e4m3fnuzELi64ELi7ELi16ELi16ELi1ELi3EEviiiPKT0_S5_PT_PKfS9_ii.uses_flat_scratch, or(0, .L__assert_fail.uses_flat_scratch)
	.set _Z13wvSplitKQ_hf_I14__hip_bfloat16N3c1015Float8_e4m3fnuzELi64ELi7ELi16ELi16ELi1ELi3EEviiiPKT0_S5_PT_PKfS9_ii.has_dyn_sized_stack, or(0, .L__assert_fail.has_dyn_sized_stack)
	.set _Z13wvSplitKQ_hf_I14__hip_bfloat16N3c1015Float8_e4m3fnuzELi64ELi7ELi16ELi16ELi1ELi3EEviiiPKT0_S5_PT_PKfS9_ii.has_recursion, or(0, .L__assert_fail.has_recursion)
	.set _Z13wvSplitKQ_hf_I14__hip_bfloat16N3c1015Float8_e4m3fnuzELi64ELi7ELi16ELi16ELi1ELi3EEviiiPKT0_S5_PT_PKfS9_ii.has_indirect_call, or(0, .L__assert_fail.has_indirect_call)
	.section	.AMDGPU.csdata,"",@progbits
; Kernel info:
; codeLenInByte = 64
; TotalNumSgprs: 36
; NumVgprs: 51
; ScratchSize: 64
; MemoryBound: 0
; FloatMode: 240
; IeeeMode: 1
; LDSByteSize: 0 bytes/workgroup (compile time only)
; SGPRBlocks: 0
; VGPRBlocks: 3
; NumSGPRsForWavesPerEU: 36
; NumVGPRsForWavesPerEU: 51
; NamedBarCnt: 0
; Occupancy: 16
; WaveLimiterHint : 1
; COMPUTE_PGM_RSRC2:SCRATCH_EN: 1
; COMPUTE_PGM_RSRC2:USER_SGPR: 2
; COMPUTE_PGM_RSRC2:TRAP_HANDLER: 0
; COMPUTE_PGM_RSRC2:TGID_X_EN: 1
; COMPUTE_PGM_RSRC2:TGID_Y_EN: 0
; COMPUTE_PGM_RSRC2:TGID_Z_EN: 0
; COMPUTE_PGM_RSRC2:TIDIG_COMP_CNT: 0
	.section	.text._Z17wvSplitKQ_hf_sml_I14__hip_bfloat16N3c1015Float8_e4m3fnuzELi64ELi4ELi16ELi16ELi1ELi4EEviiiPKT0_S5_PT_PKfS9_ii,"axG",@progbits,_Z17wvSplitKQ_hf_sml_I14__hip_bfloat16N3c1015Float8_e4m3fnuzELi64ELi4ELi16ELi16ELi1ELi4EEviiiPKT0_S5_PT_PKfS9_ii,comdat
	.protected	_Z17wvSplitKQ_hf_sml_I14__hip_bfloat16N3c1015Float8_e4m3fnuzELi64ELi4ELi16ELi16ELi1ELi4EEviiiPKT0_S5_PT_PKfS9_ii ; -- Begin function _Z17wvSplitKQ_hf_sml_I14__hip_bfloat16N3c1015Float8_e4m3fnuzELi64ELi4ELi16ELi16ELi1ELi4EEviiiPKT0_S5_PT_PKfS9_ii
	.globl	_Z17wvSplitKQ_hf_sml_I14__hip_bfloat16N3c1015Float8_e4m3fnuzELi64ELi4ELi16ELi16ELi1ELi4EEviiiPKT0_S5_PT_PKfS9_ii
	.p2align	8
	.type	_Z17wvSplitKQ_hf_sml_I14__hip_bfloat16N3c1015Float8_e4m3fnuzELi64ELi4ELi16ELi16ELi1ELi4EEviiiPKT0_S5_PT_PKfS9_ii,@function
_Z17wvSplitKQ_hf_sml_I14__hip_bfloat16N3c1015Float8_e4m3fnuzELi64ELi4ELi16ELi16ELi1ELi4EEviiiPKT0_S5_PT_PKfS9_ii: ; @_Z17wvSplitKQ_hf_sml_I14__hip_bfloat16N3c1015Float8_e4m3fnuzELi64ELi4ELi16ELi16ELi1ELi4EEviiiPKT0_S5_PT_PKfS9_ii
; %bb.0:
	s_get_pc_i64 s[2:3]
	s_add_nc_u64 s[2:3], s[2:3], __PRETTY_FUNCTION__._Z17wvSplitKQ_hf_sml_I14__hip_bfloat16N3c1015Float8_e4m3fnuzELi64ELi4ELi16ELi16ELi1ELi4EEviiiPKT0_S5_PT_PKfS9_ii@rel64+4
	s_delay_alu instid0(SALU_CYCLE_1)
	v_dual_mov_b32 v0, 0x5c1 :: v_dual_mov_b32 v1, s2
	v_mov_b32_e32 v2, s3
	s_add_nc_u64 s[8:9], s[0:1], 64
	s_get_pc_i64 s[0:1]
	s_add_nc_u64 s[0:1], s[0:1], __assert_fail@rel64+4
	s_mov_b32 s32, 0
	s_swap_pc_i64 s[30:31], s[0:1]
	.section	.rodata,"a",@progbits
	.p2align	6, 0x0
	.amdhsa_kernel _Z17wvSplitKQ_hf_sml_I14__hip_bfloat16N3c1015Float8_e4m3fnuzELi64ELi4ELi16ELi16ELi1ELi4EEviiiPKT0_S5_PT_PKfS9_ii
		.amdhsa_group_segment_fixed_size 0
		.amdhsa_private_segment_fixed_size 64
		.amdhsa_kernarg_size 320
		.amdhsa_user_sgpr_count 2
		.amdhsa_user_sgpr_dispatch_ptr 0
		.amdhsa_user_sgpr_queue_ptr 0
		.amdhsa_user_sgpr_kernarg_segment_ptr 1
		.amdhsa_user_sgpr_dispatch_id 0
		.amdhsa_user_sgpr_kernarg_preload_length 0
		.amdhsa_user_sgpr_kernarg_preload_offset 0
		.amdhsa_user_sgpr_private_segment_size 0
		.amdhsa_wavefront_size32 1
		.amdhsa_uses_dynamic_stack 0
		.amdhsa_enable_private_segment 1
		.amdhsa_system_sgpr_workgroup_id_x 1
		.amdhsa_system_sgpr_workgroup_id_y 0
		.amdhsa_system_sgpr_workgroup_id_z 0
		.amdhsa_system_sgpr_workgroup_info 0
		.amdhsa_system_vgpr_workitem_id 0
		.amdhsa_next_free_vgpr 51
		.amdhsa_next_free_sgpr 34
		.amdhsa_named_barrier_count 0
		.amdhsa_reserve_vcc 1
		.amdhsa_float_round_mode_32 0
		.amdhsa_float_round_mode_16_64 0
		.amdhsa_float_denorm_mode_32 3
		.amdhsa_float_denorm_mode_16_64 3
		.amdhsa_fp16_overflow 0
		.amdhsa_memory_ordered 1
		.amdhsa_forward_progress 1
		.amdhsa_inst_pref_size 1
		.amdhsa_round_robin_scheduling 0
		.amdhsa_exception_fp_ieee_invalid_op 0
		.amdhsa_exception_fp_denorm_src 0
		.amdhsa_exception_fp_ieee_div_zero 0
		.amdhsa_exception_fp_ieee_overflow 0
		.amdhsa_exception_fp_ieee_underflow 0
		.amdhsa_exception_fp_ieee_inexact 0
		.amdhsa_exception_int_div_zero 0
	.end_amdhsa_kernel
	.section	.text._Z17wvSplitKQ_hf_sml_I14__hip_bfloat16N3c1015Float8_e4m3fnuzELi64ELi4ELi16ELi16ELi1ELi4EEviiiPKT0_S5_PT_PKfS9_ii,"axG",@progbits,_Z17wvSplitKQ_hf_sml_I14__hip_bfloat16N3c1015Float8_e4m3fnuzELi64ELi4ELi16ELi16ELi1ELi4EEviiiPKT0_S5_PT_PKfS9_ii,comdat
.Lfunc_end64:
	.size	_Z17wvSplitKQ_hf_sml_I14__hip_bfloat16N3c1015Float8_e4m3fnuzELi64ELi4ELi16ELi16ELi1ELi4EEviiiPKT0_S5_PT_PKfS9_ii, .Lfunc_end64-_Z17wvSplitKQ_hf_sml_I14__hip_bfloat16N3c1015Float8_e4m3fnuzELi64ELi4ELi16ELi16ELi1ELi4EEviiiPKT0_S5_PT_PKfS9_ii
                                        ; -- End function
	.set _Z17wvSplitKQ_hf_sml_I14__hip_bfloat16N3c1015Float8_e4m3fnuzELi64ELi4ELi16ELi16ELi1ELi4EEviiiPKT0_S5_PT_PKfS9_ii.num_vgpr, max(3, .L__assert_fail.num_vgpr)
	.set _Z17wvSplitKQ_hf_sml_I14__hip_bfloat16N3c1015Float8_e4m3fnuzELi64ELi4ELi16ELi16ELi1ELi4EEviiiPKT0_S5_PT_PKfS9_ii.num_agpr, max(0, .L__assert_fail.num_agpr)
	.set _Z17wvSplitKQ_hf_sml_I14__hip_bfloat16N3c1015Float8_e4m3fnuzELi64ELi4ELi16ELi16ELi1ELi4EEviiiPKT0_S5_PT_PKfS9_ii.numbered_sgpr, max(33, .L__assert_fail.numbered_sgpr)
	.set _Z17wvSplitKQ_hf_sml_I14__hip_bfloat16N3c1015Float8_e4m3fnuzELi64ELi4ELi16ELi16ELi1ELi4EEviiiPKT0_S5_PT_PKfS9_ii.num_named_barrier, max(0, .L__assert_fail.num_named_barrier)
	.set _Z17wvSplitKQ_hf_sml_I14__hip_bfloat16N3c1015Float8_e4m3fnuzELi64ELi4ELi16ELi16ELi1ELi4EEviiiPKT0_S5_PT_PKfS9_ii.private_seg_size, 0+max(.L__assert_fail.private_seg_size)
	.set _Z17wvSplitKQ_hf_sml_I14__hip_bfloat16N3c1015Float8_e4m3fnuzELi64ELi4ELi16ELi16ELi1ELi4EEviiiPKT0_S5_PT_PKfS9_ii.uses_vcc, or(1, .L__assert_fail.uses_vcc)
	.set _Z17wvSplitKQ_hf_sml_I14__hip_bfloat16N3c1015Float8_e4m3fnuzELi64ELi4ELi16ELi16ELi1ELi4EEviiiPKT0_S5_PT_PKfS9_ii.uses_flat_scratch, or(0, .L__assert_fail.uses_flat_scratch)
	.set _Z17wvSplitKQ_hf_sml_I14__hip_bfloat16N3c1015Float8_e4m3fnuzELi64ELi4ELi16ELi16ELi1ELi4EEviiiPKT0_S5_PT_PKfS9_ii.has_dyn_sized_stack, or(0, .L__assert_fail.has_dyn_sized_stack)
	.set _Z17wvSplitKQ_hf_sml_I14__hip_bfloat16N3c1015Float8_e4m3fnuzELi64ELi4ELi16ELi16ELi1ELi4EEviiiPKT0_S5_PT_PKfS9_ii.has_recursion, or(0, .L__assert_fail.has_recursion)
	.set _Z17wvSplitKQ_hf_sml_I14__hip_bfloat16N3c1015Float8_e4m3fnuzELi64ELi4ELi16ELi16ELi1ELi4EEviiiPKT0_S5_PT_PKfS9_ii.has_indirect_call, or(0, .L__assert_fail.has_indirect_call)
	.section	.AMDGPU.csdata,"",@progbits
; Kernel info:
; codeLenInByte = 64
; TotalNumSgprs: 36
; NumVgprs: 51
; ScratchSize: 64
; MemoryBound: 0
; FloatMode: 240
; IeeeMode: 1
; LDSByteSize: 0 bytes/workgroup (compile time only)
; SGPRBlocks: 0
; VGPRBlocks: 3
; NumSGPRsForWavesPerEU: 36
; NumVGPRsForWavesPerEU: 51
; NamedBarCnt: 0
; Occupancy: 16
; WaveLimiterHint : 1
; COMPUTE_PGM_RSRC2:SCRATCH_EN: 1
; COMPUTE_PGM_RSRC2:USER_SGPR: 2
; COMPUTE_PGM_RSRC2:TRAP_HANDLER: 0
; COMPUTE_PGM_RSRC2:TGID_X_EN: 1
; COMPUTE_PGM_RSRC2:TGID_Y_EN: 0
; COMPUTE_PGM_RSRC2:TGID_Z_EN: 0
; COMPUTE_PGM_RSRC2:TIDIG_COMP_CNT: 0
	.section	.text._Z13wvSplitKQ_hf_I14__hip_bfloat16N3c1015Float8_e4m3fnuzELi64ELi7ELi16ELi16ELi1ELi4EEviiiPKT0_S5_PT_PKfS9_ii,"axG",@progbits,_Z13wvSplitKQ_hf_I14__hip_bfloat16N3c1015Float8_e4m3fnuzELi64ELi7ELi16ELi16ELi1ELi4EEviiiPKT0_S5_PT_PKfS9_ii,comdat
	.protected	_Z13wvSplitKQ_hf_I14__hip_bfloat16N3c1015Float8_e4m3fnuzELi64ELi7ELi16ELi16ELi1ELi4EEviiiPKT0_S5_PT_PKfS9_ii ; -- Begin function _Z13wvSplitKQ_hf_I14__hip_bfloat16N3c1015Float8_e4m3fnuzELi64ELi7ELi16ELi16ELi1ELi4EEviiiPKT0_S5_PT_PKfS9_ii
	.globl	_Z13wvSplitKQ_hf_I14__hip_bfloat16N3c1015Float8_e4m3fnuzELi64ELi7ELi16ELi16ELi1ELi4EEviiiPKT0_S5_PT_PKfS9_ii
	.p2align	8
	.type	_Z13wvSplitKQ_hf_I14__hip_bfloat16N3c1015Float8_e4m3fnuzELi64ELi7ELi16ELi16ELi1ELi4EEviiiPKT0_S5_PT_PKfS9_ii,@function
_Z13wvSplitKQ_hf_I14__hip_bfloat16N3c1015Float8_e4m3fnuzELi64ELi7ELi16ELi16ELi1ELi4EEviiiPKT0_S5_PT_PKfS9_ii: ; @_Z13wvSplitKQ_hf_I14__hip_bfloat16N3c1015Float8_e4m3fnuzELi64ELi7ELi16ELi16ELi1ELi4EEviiiPKT0_S5_PT_PKfS9_ii
; %bb.0:
	s_get_pc_i64 s[2:3]
	s_add_nc_u64 s[2:3], s[2:3], __PRETTY_FUNCTION__._Z13wvSplitKQ_hf_I14__hip_bfloat16N3c1015Float8_e4m3fnuzELi64ELi7ELi16ELi16ELi1ELi4EEviiiPKT0_S5_PT_PKfS9_ii@rel64+4
	s_delay_alu instid0(SALU_CYCLE_1)
	v_dual_mov_b32 v0, 0x66e :: v_dual_mov_b32 v1, s2
	v_mov_b32_e32 v2, s3
	s_add_nc_u64 s[8:9], s[0:1], 64
	s_get_pc_i64 s[0:1]
	s_add_nc_u64 s[0:1], s[0:1], __assert_fail@rel64+4
	s_mov_b32 s32, 0
	s_swap_pc_i64 s[30:31], s[0:1]
	.section	.rodata,"a",@progbits
	.p2align	6, 0x0
	.amdhsa_kernel _Z13wvSplitKQ_hf_I14__hip_bfloat16N3c1015Float8_e4m3fnuzELi64ELi7ELi16ELi16ELi1ELi4EEviiiPKT0_S5_PT_PKfS9_ii
		.amdhsa_group_segment_fixed_size 0
		.amdhsa_private_segment_fixed_size 64
		.amdhsa_kernarg_size 320
		.amdhsa_user_sgpr_count 2
		.amdhsa_user_sgpr_dispatch_ptr 0
		.amdhsa_user_sgpr_queue_ptr 0
		.amdhsa_user_sgpr_kernarg_segment_ptr 1
		.amdhsa_user_sgpr_dispatch_id 0
		.amdhsa_user_sgpr_kernarg_preload_length 0
		.amdhsa_user_sgpr_kernarg_preload_offset 0
		.amdhsa_user_sgpr_private_segment_size 0
		.amdhsa_wavefront_size32 1
		.amdhsa_uses_dynamic_stack 0
		.amdhsa_enable_private_segment 1
		.amdhsa_system_sgpr_workgroup_id_x 1
		.amdhsa_system_sgpr_workgroup_id_y 0
		.amdhsa_system_sgpr_workgroup_id_z 0
		.amdhsa_system_sgpr_workgroup_info 0
		.amdhsa_system_vgpr_workitem_id 0
		.amdhsa_next_free_vgpr 51
		.amdhsa_next_free_sgpr 34
		.amdhsa_named_barrier_count 0
		.amdhsa_reserve_vcc 1
		.amdhsa_float_round_mode_32 0
		.amdhsa_float_round_mode_16_64 0
		.amdhsa_float_denorm_mode_32 3
		.amdhsa_float_denorm_mode_16_64 3
		.amdhsa_fp16_overflow 0
		.amdhsa_memory_ordered 1
		.amdhsa_forward_progress 1
		.amdhsa_inst_pref_size 1
		.amdhsa_round_robin_scheduling 0
		.amdhsa_exception_fp_ieee_invalid_op 0
		.amdhsa_exception_fp_denorm_src 0
		.amdhsa_exception_fp_ieee_div_zero 0
		.amdhsa_exception_fp_ieee_overflow 0
		.amdhsa_exception_fp_ieee_underflow 0
		.amdhsa_exception_fp_ieee_inexact 0
		.amdhsa_exception_int_div_zero 0
	.end_amdhsa_kernel
	.section	.text._Z13wvSplitKQ_hf_I14__hip_bfloat16N3c1015Float8_e4m3fnuzELi64ELi7ELi16ELi16ELi1ELi4EEviiiPKT0_S5_PT_PKfS9_ii,"axG",@progbits,_Z13wvSplitKQ_hf_I14__hip_bfloat16N3c1015Float8_e4m3fnuzELi64ELi7ELi16ELi16ELi1ELi4EEviiiPKT0_S5_PT_PKfS9_ii,comdat
.Lfunc_end65:
	.size	_Z13wvSplitKQ_hf_I14__hip_bfloat16N3c1015Float8_e4m3fnuzELi64ELi7ELi16ELi16ELi1ELi4EEviiiPKT0_S5_PT_PKfS9_ii, .Lfunc_end65-_Z13wvSplitKQ_hf_I14__hip_bfloat16N3c1015Float8_e4m3fnuzELi64ELi7ELi16ELi16ELi1ELi4EEviiiPKT0_S5_PT_PKfS9_ii
                                        ; -- End function
	.set _Z13wvSplitKQ_hf_I14__hip_bfloat16N3c1015Float8_e4m3fnuzELi64ELi7ELi16ELi16ELi1ELi4EEviiiPKT0_S5_PT_PKfS9_ii.num_vgpr, max(3, .L__assert_fail.num_vgpr)
	.set _Z13wvSplitKQ_hf_I14__hip_bfloat16N3c1015Float8_e4m3fnuzELi64ELi7ELi16ELi16ELi1ELi4EEviiiPKT0_S5_PT_PKfS9_ii.num_agpr, max(0, .L__assert_fail.num_agpr)
	.set _Z13wvSplitKQ_hf_I14__hip_bfloat16N3c1015Float8_e4m3fnuzELi64ELi7ELi16ELi16ELi1ELi4EEviiiPKT0_S5_PT_PKfS9_ii.numbered_sgpr, max(33, .L__assert_fail.numbered_sgpr)
	.set _Z13wvSplitKQ_hf_I14__hip_bfloat16N3c1015Float8_e4m3fnuzELi64ELi7ELi16ELi16ELi1ELi4EEviiiPKT0_S5_PT_PKfS9_ii.num_named_barrier, max(0, .L__assert_fail.num_named_barrier)
	.set _Z13wvSplitKQ_hf_I14__hip_bfloat16N3c1015Float8_e4m3fnuzELi64ELi7ELi16ELi16ELi1ELi4EEviiiPKT0_S5_PT_PKfS9_ii.private_seg_size, 0+max(.L__assert_fail.private_seg_size)
	.set _Z13wvSplitKQ_hf_I14__hip_bfloat16N3c1015Float8_e4m3fnuzELi64ELi7ELi16ELi16ELi1ELi4EEviiiPKT0_S5_PT_PKfS9_ii.uses_vcc, or(1, .L__assert_fail.uses_vcc)
	.set _Z13wvSplitKQ_hf_I14__hip_bfloat16N3c1015Float8_e4m3fnuzELi64ELi7ELi16ELi16ELi1ELi4EEviiiPKT0_S5_PT_PKfS9_ii.uses_flat_scratch, or(0, .L__assert_fail.uses_flat_scratch)
	.set _Z13wvSplitKQ_hf_I14__hip_bfloat16N3c1015Float8_e4m3fnuzELi64ELi7ELi16ELi16ELi1ELi4EEviiiPKT0_S5_PT_PKfS9_ii.has_dyn_sized_stack, or(0, .L__assert_fail.has_dyn_sized_stack)
	.set _Z13wvSplitKQ_hf_I14__hip_bfloat16N3c1015Float8_e4m3fnuzELi64ELi7ELi16ELi16ELi1ELi4EEviiiPKT0_S5_PT_PKfS9_ii.has_recursion, or(0, .L__assert_fail.has_recursion)
	.set _Z13wvSplitKQ_hf_I14__hip_bfloat16N3c1015Float8_e4m3fnuzELi64ELi7ELi16ELi16ELi1ELi4EEviiiPKT0_S5_PT_PKfS9_ii.has_indirect_call, or(0, .L__assert_fail.has_indirect_call)
	.section	.AMDGPU.csdata,"",@progbits
; Kernel info:
; codeLenInByte = 64
; TotalNumSgprs: 36
; NumVgprs: 51
; ScratchSize: 64
; MemoryBound: 0
; FloatMode: 240
; IeeeMode: 1
; LDSByteSize: 0 bytes/workgroup (compile time only)
; SGPRBlocks: 0
; VGPRBlocks: 3
; NumSGPRsForWavesPerEU: 36
; NumVGPRsForWavesPerEU: 51
; NamedBarCnt: 0
; Occupancy: 16
; WaveLimiterHint : 1
; COMPUTE_PGM_RSRC2:SCRATCH_EN: 1
; COMPUTE_PGM_RSRC2:USER_SGPR: 2
; COMPUTE_PGM_RSRC2:TRAP_HANDLER: 0
; COMPUTE_PGM_RSRC2:TGID_X_EN: 1
; COMPUTE_PGM_RSRC2:TGID_Y_EN: 0
; COMPUTE_PGM_RSRC2:TGID_Z_EN: 0
; COMPUTE_PGM_RSRC2:TIDIG_COMP_CNT: 0
	.text
	.p2alignl 7, 3214868480
	.fill 96, 4, 3214868480
	.section	.AMDGPU.gpr_maximums,"",@progbits
	.set amdgpu.max_num_vgpr, 51
	.set amdgpu.max_num_agpr, 0
	.set amdgpu.max_num_sgpr, 34
	.text
	.type	__const.__assert_fail.fmt,@object ; @__const.__assert_fail.fmt
	.section	.rodata.str1.16,"aMS",@progbits,1
	.p2align	4, 0x0
__const.__assert_fail.fmt:
	.asciz	"%s:%u: %s: Device-side assertion `%s' failed.\n"
	.size	__const.__assert_fail.fmt, 47

	.type	.str.3,@object                  ; @.str.3
	.section	.rodata.str1.1,"aMS",@progbits,1
.str.3:
	.asciz	"false"
	.size	.str.3, 6

	.type	.str.4,@object                  ; @.str.4
.str.4:
	.asciz	"/root/src/amdgpu-assembly/repos/ROCm__vllm/csrc/rocm/skinny_gemms.hip"
	.size	.str.4, 70

	.type	__PRETTY_FUNCTION__._Z16wvSplitK_hf_sml_I6__halfLi64ELi2ELi16ELi8ELi2ELi1EEviiPKT_S3_PS1_ii,@object ; @__PRETTY_FUNCTION__._Z16wvSplitK_hf_sml_I6__halfLi64ELi2ELi16ELi8ELi2ELi1EEviiPKT_S3_PS1_ii
__PRETTY_FUNCTION__._Z16wvSplitK_hf_sml_I6__halfLi64ELi2ELi16ELi8ELi2ELi1EEviiPKT_S3_PS1_ii:
	.asciz	"void wvSplitK_hf_sml_(const int, const int, const scalar_t *, const scalar_t *__restrict, scalar_t *, const int, const int) [scalar_t = __half, THRDS = 64, YTILE = 2, WvPrGrp = 16, A_CHUNK = 8, UNRL = 2, N = 1]"
	.size	__PRETTY_FUNCTION__._Z16wvSplitK_hf_sml_I6__halfLi64ELi2ELi16ELi8ELi2ELi1EEviiPKT_S3_PS1_ii, 211

	.type	__PRETTY_FUNCTION__._Z12wvSplitK_hf_I6__halfLi64ELi2ELi16ELi8ELi2ELi1EEviiPKT_S3_PS1_ii,@object ; @__PRETTY_FUNCTION__._Z12wvSplitK_hf_I6__halfLi64ELi2ELi16ELi8ELi2ELi1EEviiPKT_S3_PS1_ii
__PRETTY_FUNCTION__._Z12wvSplitK_hf_I6__halfLi64ELi2ELi16ELi8ELi2ELi1EEviiPKT_S3_PS1_ii:
	.asciz	"void wvSplitK_hf_(const int, const int, const scalar_t *, const scalar_t *__restrict, scalar_t *, const int, const int) [scalar_t = __half, THRDS = 64, YTILE = 2, WvPrGrp = 16, A_CHUNK = 8, UNRL = 2, N = 1]"
	.size	__PRETTY_FUNCTION__._Z12wvSplitK_hf_I6__halfLi64ELi2ELi16ELi8ELi2ELi1EEviiPKT_S3_PS1_ii, 207

	.type	__PRETTY_FUNCTION__._Z16wvSplitK_hf_big_I6__halfLi64ELi2ELi16ELi8ELi2ELi1EEviiPKT_S3_PS1_ii,@object ; @__PRETTY_FUNCTION__._Z16wvSplitK_hf_big_I6__halfLi64ELi2ELi16ELi8ELi2ELi1EEviiPKT_S3_PS1_ii
__PRETTY_FUNCTION__._Z16wvSplitK_hf_big_I6__halfLi64ELi2ELi16ELi8ELi2ELi1EEviiPKT_S3_PS1_ii:
	.asciz	"void wvSplitK_hf_big_(const int, const int, const scalar_t *, const scalar_t *__restrict, scalar_t *, const int, const int) [scalar_t = __half, THRDS = 64, YTILE = 2, WvPrGrp = 16, A_CHUNK = 8, UNRL = 2, N = 1]"
	.size	__PRETTY_FUNCTION__._Z16wvSplitK_hf_big_I6__halfLi64ELi2ELi16ELi8ELi2ELi1EEviiPKT_S3_PS1_ii, 211

	.type	__PRETTY_FUNCTION__._Z16wvSplitK_hf_sml_I6__halfLi64ELi2ELi16ELi8ELi2ELi2EEviiPKT_S3_PS1_ii,@object ; @__PRETTY_FUNCTION__._Z16wvSplitK_hf_sml_I6__halfLi64ELi2ELi16ELi8ELi2ELi2EEviiPKT_S3_PS1_ii
__PRETTY_FUNCTION__._Z16wvSplitK_hf_sml_I6__halfLi64ELi2ELi16ELi8ELi2ELi2EEviiPKT_S3_PS1_ii:
	.asciz	"void wvSplitK_hf_sml_(const int, const int, const scalar_t *, const scalar_t *__restrict, scalar_t *, const int, const int) [scalar_t = __half, THRDS = 64, YTILE = 2, WvPrGrp = 16, A_CHUNK = 8, UNRL = 2, N = 2]"
	.size	__PRETTY_FUNCTION__._Z16wvSplitK_hf_sml_I6__halfLi64ELi2ELi16ELi8ELi2ELi2EEviiPKT_S3_PS1_ii, 211

	.type	__PRETTY_FUNCTION__._Z12wvSplitK_hf_I6__halfLi64ELi2ELi16ELi8ELi2ELi2EEviiPKT_S3_PS1_ii,@object ; @__PRETTY_FUNCTION__._Z12wvSplitK_hf_I6__halfLi64ELi2ELi16ELi8ELi2ELi2EEviiPKT_S3_PS1_ii
__PRETTY_FUNCTION__._Z12wvSplitK_hf_I6__halfLi64ELi2ELi16ELi8ELi2ELi2EEviiPKT_S3_PS1_ii:
	.asciz	"void wvSplitK_hf_(const int, const int, const scalar_t *, const scalar_t *__restrict, scalar_t *, const int, const int) [scalar_t = __half, THRDS = 64, YTILE = 2, WvPrGrp = 16, A_CHUNK = 8, UNRL = 2, N = 2]"
	.size	__PRETTY_FUNCTION__._Z12wvSplitK_hf_I6__halfLi64ELi2ELi16ELi8ELi2ELi2EEviiPKT_S3_PS1_ii, 207

	.type	__PRETTY_FUNCTION__._Z16wvSplitK_hf_big_I6__halfLi64ELi2ELi16ELi8ELi2ELi2EEviiPKT_S3_PS1_ii,@object ; @__PRETTY_FUNCTION__._Z16wvSplitK_hf_big_I6__halfLi64ELi2ELi16ELi8ELi2ELi2EEviiPKT_S3_PS1_ii
__PRETTY_FUNCTION__._Z16wvSplitK_hf_big_I6__halfLi64ELi2ELi16ELi8ELi2ELi2EEviiPKT_S3_PS1_ii:
	.asciz	"void wvSplitK_hf_big_(const int, const int, const scalar_t *, const scalar_t *__restrict, scalar_t *, const int, const int) [scalar_t = __half, THRDS = 64, YTILE = 2, WvPrGrp = 16, A_CHUNK = 8, UNRL = 2, N = 2]"
	.size	__PRETTY_FUNCTION__._Z16wvSplitK_hf_big_I6__halfLi64ELi2ELi16ELi8ELi2ELi2EEviiPKT_S3_PS1_ii, 211

	.type	__PRETTY_FUNCTION__._Z16wvSplitK_hf_sml_I6__halfLi64ELi4ELi16ELi8ELi1ELi3EEviiPKT_S3_PS1_ii,@object ; @__PRETTY_FUNCTION__._Z16wvSplitK_hf_sml_I6__halfLi64ELi4ELi16ELi8ELi1ELi3EEviiPKT_S3_PS1_ii
__PRETTY_FUNCTION__._Z16wvSplitK_hf_sml_I6__halfLi64ELi4ELi16ELi8ELi1ELi3EEviiPKT_S3_PS1_ii:
	.asciz	"void wvSplitK_hf_sml_(const int, const int, const scalar_t *, const scalar_t *__restrict, scalar_t *, const int, const int) [scalar_t = __half, THRDS = 64, YTILE = 4, WvPrGrp = 16, A_CHUNK = 8, UNRL = 1, N = 3]"
	.size	__PRETTY_FUNCTION__._Z16wvSplitK_hf_sml_I6__halfLi64ELi4ELi16ELi8ELi1ELi3EEviiPKT_S3_PS1_ii, 211

	.type	__PRETTY_FUNCTION__._Z12wvSplitK_hf_I6__halfLi64ELi7ELi16ELi8ELi1ELi3EEviiPKT_S3_PS1_ii,@object ; @__PRETTY_FUNCTION__._Z12wvSplitK_hf_I6__halfLi64ELi7ELi16ELi8ELi1ELi3EEviiPKT_S3_PS1_ii
__PRETTY_FUNCTION__._Z12wvSplitK_hf_I6__halfLi64ELi7ELi16ELi8ELi1ELi3EEviiPKT_S3_PS1_ii:
	.asciz	"void wvSplitK_hf_(const int, const int, const scalar_t *, const scalar_t *__restrict, scalar_t *, const int, const int) [scalar_t = __half, THRDS = 64, YTILE = 7, WvPrGrp = 16, A_CHUNK = 8, UNRL = 1, N = 3]"
	.size	__PRETTY_FUNCTION__._Z12wvSplitK_hf_I6__halfLi64ELi7ELi16ELi8ELi1ELi3EEviiPKT_S3_PS1_ii, 207

	.type	__PRETTY_FUNCTION__._Z16wvSplitK_hf_big_I6__halfLi64ELi7ELi16ELi8ELi1ELi3EEviiPKT_S3_PS1_ii,@object ; @__PRETTY_FUNCTION__._Z16wvSplitK_hf_big_I6__halfLi64ELi7ELi16ELi8ELi1ELi3EEviiPKT_S3_PS1_ii
__PRETTY_FUNCTION__._Z16wvSplitK_hf_big_I6__halfLi64ELi7ELi16ELi8ELi1ELi3EEviiPKT_S3_PS1_ii:
	.asciz	"void wvSplitK_hf_big_(const int, const int, const scalar_t *, const scalar_t *__restrict, scalar_t *, const int, const int) [scalar_t = __half, THRDS = 64, YTILE = 7, WvPrGrp = 16, A_CHUNK = 8, UNRL = 1, N = 3]"
	.size	__PRETTY_FUNCTION__._Z16wvSplitK_hf_big_I6__halfLi64ELi7ELi16ELi8ELi1ELi3EEviiPKT_S3_PS1_ii, 211

	.type	__PRETTY_FUNCTION__._Z16wvSplitK_hf_sml_I6__halfLi64ELi4ELi16ELi8ELi1ELi4EEviiPKT_S3_PS1_ii,@object ; @__PRETTY_FUNCTION__._Z16wvSplitK_hf_sml_I6__halfLi64ELi4ELi16ELi8ELi1ELi4EEviiPKT_S3_PS1_ii
__PRETTY_FUNCTION__._Z16wvSplitK_hf_sml_I6__halfLi64ELi4ELi16ELi8ELi1ELi4EEviiPKT_S3_PS1_ii:
	.asciz	"void wvSplitK_hf_sml_(const int, const int, const scalar_t *, const scalar_t *__restrict, scalar_t *, const int, const int) [scalar_t = __half, THRDS = 64, YTILE = 4, WvPrGrp = 16, A_CHUNK = 8, UNRL = 1, N = 4]"
	.size	__PRETTY_FUNCTION__._Z16wvSplitK_hf_sml_I6__halfLi64ELi4ELi16ELi8ELi1ELi4EEviiPKT_S3_PS1_ii, 211

	.type	__PRETTY_FUNCTION__._Z12wvSplitK_hf_I6__halfLi64ELi7ELi16ELi8ELi1ELi4EEviiPKT_S3_PS1_ii,@object ; @__PRETTY_FUNCTION__._Z12wvSplitK_hf_I6__halfLi64ELi7ELi16ELi8ELi1ELi4EEviiPKT_S3_PS1_ii
__PRETTY_FUNCTION__._Z12wvSplitK_hf_I6__halfLi64ELi7ELi16ELi8ELi1ELi4EEviiPKT_S3_PS1_ii:
	.asciz	"void wvSplitK_hf_(const int, const int, const scalar_t *, const scalar_t *__restrict, scalar_t *, const int, const int) [scalar_t = __half, THRDS = 64, YTILE = 7, WvPrGrp = 16, A_CHUNK = 8, UNRL = 1, N = 4]"
	.size	__PRETTY_FUNCTION__._Z12wvSplitK_hf_I6__halfLi64ELi7ELi16ELi8ELi1ELi4EEviiPKT_S3_PS1_ii, 207

	.type	__PRETTY_FUNCTION__._Z16wvSplitK_hf_big_I6__halfLi64ELi7ELi16ELi8ELi1ELi4EEviiPKT_S3_PS1_ii,@object ; @__PRETTY_FUNCTION__._Z16wvSplitK_hf_big_I6__halfLi64ELi7ELi16ELi8ELi1ELi4EEviiPKT_S3_PS1_ii
__PRETTY_FUNCTION__._Z16wvSplitK_hf_big_I6__halfLi64ELi7ELi16ELi8ELi1ELi4EEviiPKT_S3_PS1_ii:
	.asciz	"void wvSplitK_hf_big_(const int, const int, const scalar_t *, const scalar_t *__restrict, scalar_t *, const int, const int) [scalar_t = __half, THRDS = 64, YTILE = 7, WvPrGrp = 16, A_CHUNK = 8, UNRL = 1, N = 4]"
	.size	__PRETTY_FUNCTION__._Z16wvSplitK_hf_big_I6__halfLi64ELi7ELi16ELi8ELi1ELi4EEviiPKT_S3_PS1_ii, 211

	.type	__PRETTY_FUNCTION__._Z16wvSplitK_hf_sml_I14__hip_bfloat16Li64ELi2ELi16ELi8ELi2ELi1EEviiPKT_S3_PS1_ii,@object ; @__PRETTY_FUNCTION__._Z16wvSplitK_hf_sml_I14__hip_bfloat16Li64ELi2ELi16ELi8ELi2ELi1EEviiPKT_S3_PS1_ii
__PRETTY_FUNCTION__._Z16wvSplitK_hf_sml_I14__hip_bfloat16Li64ELi2ELi16ELi8ELi2ELi1EEviiPKT_S3_PS1_ii:
	.asciz	"void wvSplitK_hf_sml_(const int, const int, const scalar_t *, const scalar_t *__restrict, scalar_t *, const int, const int) [scalar_t = __hip_bfloat16, THRDS = 64, YTILE = 2, WvPrGrp = 16, A_CHUNK = 8, UNRL = 2, N = 1]"
	.size	__PRETTY_FUNCTION__._Z16wvSplitK_hf_sml_I14__hip_bfloat16Li64ELi2ELi16ELi8ELi2ELi1EEviiPKT_S3_PS1_ii, 219

	.type	__PRETTY_FUNCTION__._Z12wvSplitK_hf_I14__hip_bfloat16Li64ELi2ELi16ELi8ELi2ELi1EEviiPKT_S3_PS1_ii,@object ; @__PRETTY_FUNCTION__._Z12wvSplitK_hf_I14__hip_bfloat16Li64ELi2ELi16ELi8ELi2ELi1EEviiPKT_S3_PS1_ii
__PRETTY_FUNCTION__._Z12wvSplitK_hf_I14__hip_bfloat16Li64ELi2ELi16ELi8ELi2ELi1EEviiPKT_S3_PS1_ii:
	.asciz	"void wvSplitK_hf_(const int, const int, const scalar_t *, const scalar_t *__restrict, scalar_t *, const int, const int) [scalar_t = __hip_bfloat16, THRDS = 64, YTILE = 2, WvPrGrp = 16, A_CHUNK = 8, UNRL = 2, N = 1]"
	.size	__PRETTY_FUNCTION__._Z12wvSplitK_hf_I14__hip_bfloat16Li64ELi2ELi16ELi8ELi2ELi1EEviiPKT_S3_PS1_ii, 215

	.type	__PRETTY_FUNCTION__._Z16wvSplitK_hf_big_I14__hip_bfloat16Li64ELi2ELi16ELi8ELi2ELi1EEviiPKT_S3_PS1_ii,@object ; @__PRETTY_FUNCTION__._Z16wvSplitK_hf_big_I14__hip_bfloat16Li64ELi2ELi16ELi8ELi2ELi1EEviiPKT_S3_PS1_ii
__PRETTY_FUNCTION__._Z16wvSplitK_hf_big_I14__hip_bfloat16Li64ELi2ELi16ELi8ELi2ELi1EEviiPKT_S3_PS1_ii:
	.asciz	"void wvSplitK_hf_big_(const int, const int, const scalar_t *, const scalar_t *__restrict, scalar_t *, const int, const int) [scalar_t = __hip_bfloat16, THRDS = 64, YTILE = 2, WvPrGrp = 16, A_CHUNK = 8, UNRL = 2, N = 1]"
	.size	__PRETTY_FUNCTION__._Z16wvSplitK_hf_big_I14__hip_bfloat16Li64ELi2ELi16ELi8ELi2ELi1EEviiPKT_S3_PS1_ii, 219

	.type	__PRETTY_FUNCTION__._Z16wvSplitK_hf_sml_I14__hip_bfloat16Li64ELi2ELi16ELi8ELi2ELi2EEviiPKT_S3_PS1_ii,@object ; @__PRETTY_FUNCTION__._Z16wvSplitK_hf_sml_I14__hip_bfloat16Li64ELi2ELi16ELi8ELi2ELi2EEviiPKT_S3_PS1_ii
__PRETTY_FUNCTION__._Z16wvSplitK_hf_sml_I14__hip_bfloat16Li64ELi2ELi16ELi8ELi2ELi2EEviiPKT_S3_PS1_ii:
	.asciz	"void wvSplitK_hf_sml_(const int, const int, const scalar_t *, const scalar_t *__restrict, scalar_t *, const int, const int) [scalar_t = __hip_bfloat16, THRDS = 64, YTILE = 2, WvPrGrp = 16, A_CHUNK = 8, UNRL = 2, N = 2]"
	.size	__PRETTY_FUNCTION__._Z16wvSplitK_hf_sml_I14__hip_bfloat16Li64ELi2ELi16ELi8ELi2ELi2EEviiPKT_S3_PS1_ii, 219

	.type	__PRETTY_FUNCTION__._Z12wvSplitK_hf_I14__hip_bfloat16Li64ELi2ELi16ELi8ELi2ELi2EEviiPKT_S3_PS1_ii,@object ; @__PRETTY_FUNCTION__._Z12wvSplitK_hf_I14__hip_bfloat16Li64ELi2ELi16ELi8ELi2ELi2EEviiPKT_S3_PS1_ii
__PRETTY_FUNCTION__._Z12wvSplitK_hf_I14__hip_bfloat16Li64ELi2ELi16ELi8ELi2ELi2EEviiPKT_S3_PS1_ii:
	.asciz	"void wvSplitK_hf_(const int, const int, const scalar_t *, const scalar_t *__restrict, scalar_t *, const int, const int) [scalar_t = __hip_bfloat16, THRDS = 64, YTILE = 2, WvPrGrp = 16, A_CHUNK = 8, UNRL = 2, N = 2]"
	.size	__PRETTY_FUNCTION__._Z12wvSplitK_hf_I14__hip_bfloat16Li64ELi2ELi16ELi8ELi2ELi2EEviiPKT_S3_PS1_ii, 215

	.type	__PRETTY_FUNCTION__._Z16wvSplitK_hf_big_I14__hip_bfloat16Li64ELi2ELi16ELi8ELi2ELi2EEviiPKT_S3_PS1_ii,@object ; @__PRETTY_FUNCTION__._Z16wvSplitK_hf_big_I14__hip_bfloat16Li64ELi2ELi16ELi8ELi2ELi2EEviiPKT_S3_PS1_ii
__PRETTY_FUNCTION__._Z16wvSplitK_hf_big_I14__hip_bfloat16Li64ELi2ELi16ELi8ELi2ELi2EEviiPKT_S3_PS1_ii:
	.asciz	"void wvSplitK_hf_big_(const int, const int, const scalar_t *, const scalar_t *__restrict, scalar_t *, const int, const int) [scalar_t = __hip_bfloat16, THRDS = 64, YTILE = 2, WvPrGrp = 16, A_CHUNK = 8, UNRL = 2, N = 2]"
	.size	__PRETTY_FUNCTION__._Z16wvSplitK_hf_big_I14__hip_bfloat16Li64ELi2ELi16ELi8ELi2ELi2EEviiPKT_S3_PS1_ii, 219

	.type	__PRETTY_FUNCTION__._Z16wvSplitK_hf_sml_I14__hip_bfloat16Li64ELi4ELi16ELi8ELi1ELi3EEviiPKT_S3_PS1_ii,@object ; @__PRETTY_FUNCTION__._Z16wvSplitK_hf_sml_I14__hip_bfloat16Li64ELi4ELi16ELi8ELi1ELi3EEviiPKT_S3_PS1_ii
__PRETTY_FUNCTION__._Z16wvSplitK_hf_sml_I14__hip_bfloat16Li64ELi4ELi16ELi8ELi1ELi3EEviiPKT_S3_PS1_ii:
	.asciz	"void wvSplitK_hf_sml_(const int, const int, const scalar_t *, const scalar_t *__restrict, scalar_t *, const int, const int) [scalar_t = __hip_bfloat16, THRDS = 64, YTILE = 4, WvPrGrp = 16, A_CHUNK = 8, UNRL = 1, N = 3]"
	.size	__PRETTY_FUNCTION__._Z16wvSplitK_hf_sml_I14__hip_bfloat16Li64ELi4ELi16ELi8ELi1ELi3EEviiPKT_S3_PS1_ii, 219

	.type	__PRETTY_FUNCTION__._Z12wvSplitK_hf_I14__hip_bfloat16Li64ELi7ELi16ELi8ELi1ELi3EEviiPKT_S3_PS1_ii,@object ; @__PRETTY_FUNCTION__._Z12wvSplitK_hf_I14__hip_bfloat16Li64ELi7ELi16ELi8ELi1ELi3EEviiPKT_S3_PS1_ii
__PRETTY_FUNCTION__._Z12wvSplitK_hf_I14__hip_bfloat16Li64ELi7ELi16ELi8ELi1ELi3EEviiPKT_S3_PS1_ii:
	.asciz	"void wvSplitK_hf_(const int, const int, const scalar_t *, const scalar_t *__restrict, scalar_t *, const int, const int) [scalar_t = __hip_bfloat16, THRDS = 64, YTILE = 7, WvPrGrp = 16, A_CHUNK = 8, UNRL = 1, N = 3]"
	.size	__PRETTY_FUNCTION__._Z12wvSplitK_hf_I14__hip_bfloat16Li64ELi7ELi16ELi8ELi1ELi3EEviiPKT_S3_PS1_ii, 215

	.type	__PRETTY_FUNCTION__._Z16wvSplitK_hf_big_I14__hip_bfloat16Li64ELi7ELi16ELi8ELi1ELi3EEviiPKT_S3_PS1_ii,@object ; @__PRETTY_FUNCTION__._Z16wvSplitK_hf_big_I14__hip_bfloat16Li64ELi7ELi16ELi8ELi1ELi3EEviiPKT_S3_PS1_ii
__PRETTY_FUNCTION__._Z16wvSplitK_hf_big_I14__hip_bfloat16Li64ELi7ELi16ELi8ELi1ELi3EEviiPKT_S3_PS1_ii:
	.asciz	"void wvSplitK_hf_big_(const int, const int, const scalar_t *, const scalar_t *__restrict, scalar_t *, const int, const int) [scalar_t = __hip_bfloat16, THRDS = 64, YTILE = 7, WvPrGrp = 16, A_CHUNK = 8, UNRL = 1, N = 3]"
	.size	__PRETTY_FUNCTION__._Z16wvSplitK_hf_big_I14__hip_bfloat16Li64ELi7ELi16ELi8ELi1ELi3EEviiPKT_S3_PS1_ii, 219

	.type	__PRETTY_FUNCTION__._Z16wvSplitK_hf_sml_I14__hip_bfloat16Li64ELi4ELi16ELi8ELi1ELi4EEviiPKT_S3_PS1_ii,@object ; @__PRETTY_FUNCTION__._Z16wvSplitK_hf_sml_I14__hip_bfloat16Li64ELi4ELi16ELi8ELi1ELi4EEviiPKT_S3_PS1_ii
__PRETTY_FUNCTION__._Z16wvSplitK_hf_sml_I14__hip_bfloat16Li64ELi4ELi16ELi8ELi1ELi4EEviiPKT_S3_PS1_ii:
	.asciz	"void wvSplitK_hf_sml_(const int, const int, const scalar_t *, const scalar_t *__restrict, scalar_t *, const int, const int) [scalar_t = __hip_bfloat16, THRDS = 64, YTILE = 4, WvPrGrp = 16, A_CHUNK = 8, UNRL = 1, N = 4]"
	.size	__PRETTY_FUNCTION__._Z16wvSplitK_hf_sml_I14__hip_bfloat16Li64ELi4ELi16ELi8ELi1ELi4EEviiPKT_S3_PS1_ii, 219

	.type	__PRETTY_FUNCTION__._Z12wvSplitK_hf_I14__hip_bfloat16Li64ELi7ELi16ELi8ELi1ELi4EEviiPKT_S3_PS1_ii,@object ; @__PRETTY_FUNCTION__._Z12wvSplitK_hf_I14__hip_bfloat16Li64ELi7ELi16ELi8ELi1ELi4EEviiPKT_S3_PS1_ii
__PRETTY_FUNCTION__._Z12wvSplitK_hf_I14__hip_bfloat16Li64ELi7ELi16ELi8ELi1ELi4EEviiPKT_S3_PS1_ii:
	.asciz	"void wvSplitK_hf_(const int, const int, const scalar_t *, const scalar_t *__restrict, scalar_t *, const int, const int) [scalar_t = __hip_bfloat16, THRDS = 64, YTILE = 7, WvPrGrp = 16, A_CHUNK = 8, UNRL = 1, N = 4]"
	.size	__PRETTY_FUNCTION__._Z12wvSplitK_hf_I14__hip_bfloat16Li64ELi7ELi16ELi8ELi1ELi4EEviiPKT_S3_PS1_ii, 215

	.type	__PRETTY_FUNCTION__._Z16wvSplitK_hf_big_I14__hip_bfloat16Li64ELi7ELi16ELi8ELi1ELi4EEviiPKT_S3_PS1_ii,@object ; @__PRETTY_FUNCTION__._Z16wvSplitK_hf_big_I14__hip_bfloat16Li64ELi7ELi16ELi8ELi1ELi4EEviiPKT_S3_PS1_ii
__PRETTY_FUNCTION__._Z16wvSplitK_hf_big_I14__hip_bfloat16Li64ELi7ELi16ELi8ELi1ELi4EEviiPKT_S3_PS1_ii:
	.asciz	"void wvSplitK_hf_big_(const int, const int, const scalar_t *, const scalar_t *__restrict, scalar_t *, const int, const int) [scalar_t = __hip_bfloat16, THRDS = 64, YTILE = 7, WvPrGrp = 16, A_CHUNK = 8, UNRL = 1, N = 4]"
	.size	__PRETTY_FUNCTION__._Z16wvSplitK_hf_big_I14__hip_bfloat16Li64ELi7ELi16ELi8ELi1ELi4EEviiPKT_S3_PS1_ii, 219

	.type	__PRETTY_FUNCTION__._Z17wvSplitKQ_hf_sml_I6__halfN3c1013Float8_e4m3fnELi64ELi2ELi16ELi16ELi2ELi1EEviiiPKT0_S5_PT_PKfS9_ii,@object ; @__PRETTY_FUNCTION__._Z17wvSplitKQ_hf_sml_I6__halfN3c1013Float8_e4m3fnELi64ELi2ELi16ELi16ELi2ELi1EEviiiPKT0_S5_PT_PKfS9_ii
__PRETTY_FUNCTION__._Z17wvSplitKQ_hf_sml_I6__halfN3c1013Float8_e4m3fnELi64ELi2ELi16ELi16ELi2ELi1EEviiiPKT0_S5_PT_PKfS9_ii:
	.asciz	"void wvSplitKQ_hf_sml_(const int, const int, const int, const fp8_t *, const fp8_t *__restrict, scalar_t *, const float *__restrict, const float *__restrict, const int, const int) [scalar_t = __half, fp8_t = c10::Float8_e4m3fn, THRDS = 64, YTILE = 2, WvPrGrp = 16, A_CHUNK = 16, UNRL = 2, N = 1]"
	.size	__PRETTY_FUNCTION__._Z17wvSplitKQ_hf_sml_I6__halfN3c1013Float8_e4m3fnELi64ELi2ELi16ELi16ELi2ELi1EEviiiPKT0_S5_PT_PKfS9_ii, 296

	.type	__PRETTY_FUNCTION__._Z13wvSplitKQ_hf_I6__halfN3c1013Float8_e4m3fnELi64ELi2ELi16ELi16ELi2ELi1EEviiiPKT0_S5_PT_PKfS9_ii,@object ; @__PRETTY_FUNCTION__._Z13wvSplitKQ_hf_I6__halfN3c1013Float8_e4m3fnELi64ELi2ELi16ELi16ELi2ELi1EEviiiPKT0_S5_PT_PKfS9_ii
__PRETTY_FUNCTION__._Z13wvSplitKQ_hf_I6__halfN3c1013Float8_e4m3fnELi64ELi2ELi16ELi16ELi2ELi1EEviiiPKT0_S5_PT_PKfS9_ii:
	.asciz	"void wvSplitKQ_hf_(const int, const int, const int, const fp8_t *, const fp8_t *__restrict, scalar_t *, const float *__restrict, const float *__restrict, const int, const int) [scalar_t = __half, fp8_t = c10::Float8_e4m3fn, THRDS = 64, YTILE = 2, WvPrGrp = 16, A_CHUNK = 16, UNRL = 2, N = 1]"
	.size	__PRETTY_FUNCTION__._Z13wvSplitKQ_hf_I6__halfN3c1013Float8_e4m3fnELi64ELi2ELi16ELi16ELi2ELi1EEviiiPKT0_S5_PT_PKfS9_ii, 292

	.type	__PRETTY_FUNCTION__._Z17wvSplitKQ_hf_sml_I6__halfN3c1013Float8_e4m3fnELi64ELi2ELi16ELi16ELi2ELi2EEviiiPKT0_S5_PT_PKfS9_ii,@object ; @__PRETTY_FUNCTION__._Z17wvSplitKQ_hf_sml_I6__halfN3c1013Float8_e4m3fnELi64ELi2ELi16ELi16ELi2ELi2EEviiiPKT0_S5_PT_PKfS9_ii
__PRETTY_FUNCTION__._Z17wvSplitKQ_hf_sml_I6__halfN3c1013Float8_e4m3fnELi64ELi2ELi16ELi16ELi2ELi2EEviiiPKT0_S5_PT_PKfS9_ii:
	.asciz	"void wvSplitKQ_hf_sml_(const int, const int, const int, const fp8_t *, const fp8_t *__restrict, scalar_t *, const float *__restrict, const float *__restrict, const int, const int) [scalar_t = __half, fp8_t = c10::Float8_e4m3fn, THRDS = 64, YTILE = 2, WvPrGrp = 16, A_CHUNK = 16, UNRL = 2, N = 2]"
	.size	__PRETTY_FUNCTION__._Z17wvSplitKQ_hf_sml_I6__halfN3c1013Float8_e4m3fnELi64ELi2ELi16ELi16ELi2ELi2EEviiiPKT0_S5_PT_PKfS9_ii, 296

	.type	__PRETTY_FUNCTION__._Z13wvSplitKQ_hf_I6__halfN3c1013Float8_e4m3fnELi64ELi2ELi16ELi16ELi2ELi2EEviiiPKT0_S5_PT_PKfS9_ii,@object ; @__PRETTY_FUNCTION__._Z13wvSplitKQ_hf_I6__halfN3c1013Float8_e4m3fnELi64ELi2ELi16ELi16ELi2ELi2EEviiiPKT0_S5_PT_PKfS9_ii
__PRETTY_FUNCTION__._Z13wvSplitKQ_hf_I6__halfN3c1013Float8_e4m3fnELi64ELi2ELi16ELi16ELi2ELi2EEviiiPKT0_S5_PT_PKfS9_ii:
	.asciz	"void wvSplitKQ_hf_(const int, const int, const int, const fp8_t *, const fp8_t *__restrict, scalar_t *, const float *__restrict, const float *__restrict, const int, const int) [scalar_t = __half, fp8_t = c10::Float8_e4m3fn, THRDS = 64, YTILE = 2, WvPrGrp = 16, A_CHUNK = 16, UNRL = 2, N = 2]"
	.size	__PRETTY_FUNCTION__._Z13wvSplitKQ_hf_I6__halfN3c1013Float8_e4m3fnELi64ELi2ELi16ELi16ELi2ELi2EEviiiPKT0_S5_PT_PKfS9_ii, 292

	.type	__PRETTY_FUNCTION__._Z17wvSplitKQ_hf_sml_I6__halfN3c1013Float8_e4m3fnELi64ELi4ELi16ELi16ELi1ELi3EEviiiPKT0_S5_PT_PKfS9_ii,@object ; @__PRETTY_FUNCTION__._Z17wvSplitKQ_hf_sml_I6__halfN3c1013Float8_e4m3fnELi64ELi4ELi16ELi16ELi1ELi3EEviiiPKT0_S5_PT_PKfS9_ii
__PRETTY_FUNCTION__._Z17wvSplitKQ_hf_sml_I6__halfN3c1013Float8_e4m3fnELi64ELi4ELi16ELi16ELi1ELi3EEviiiPKT0_S5_PT_PKfS9_ii:
	.asciz	"void wvSplitKQ_hf_sml_(const int, const int, const int, const fp8_t *, const fp8_t *__restrict, scalar_t *, const float *__restrict, const float *__restrict, const int, const int) [scalar_t = __half, fp8_t = c10::Float8_e4m3fn, THRDS = 64, YTILE = 4, WvPrGrp = 16, A_CHUNK = 16, UNRL = 1, N = 3]"
	.size	__PRETTY_FUNCTION__._Z17wvSplitKQ_hf_sml_I6__halfN3c1013Float8_e4m3fnELi64ELi4ELi16ELi16ELi1ELi3EEviiiPKT0_S5_PT_PKfS9_ii, 296

	.type	__PRETTY_FUNCTION__._Z13wvSplitKQ_hf_I6__halfN3c1013Float8_e4m3fnELi64ELi7ELi16ELi16ELi1ELi3EEviiiPKT0_S5_PT_PKfS9_ii,@object ; @__PRETTY_FUNCTION__._Z13wvSplitKQ_hf_I6__halfN3c1013Float8_e4m3fnELi64ELi7ELi16ELi16ELi1ELi3EEviiiPKT0_S5_PT_PKfS9_ii
__PRETTY_FUNCTION__._Z13wvSplitKQ_hf_I6__halfN3c1013Float8_e4m3fnELi64ELi7ELi16ELi16ELi1ELi3EEviiiPKT0_S5_PT_PKfS9_ii:
	.asciz	"void wvSplitKQ_hf_(const int, const int, const int, const fp8_t *, const fp8_t *__restrict, scalar_t *, const float *__restrict, const float *__restrict, const int, const int) [scalar_t = __half, fp8_t = c10::Float8_e4m3fn, THRDS = 64, YTILE = 7, WvPrGrp = 16, A_CHUNK = 16, UNRL = 1, N = 3]"
	.size	__PRETTY_FUNCTION__._Z13wvSplitKQ_hf_I6__halfN3c1013Float8_e4m3fnELi64ELi7ELi16ELi16ELi1ELi3EEviiiPKT0_S5_PT_PKfS9_ii, 292

	.type	__PRETTY_FUNCTION__._Z17wvSplitKQ_hf_sml_I6__halfN3c1013Float8_e4m3fnELi64ELi4ELi16ELi16ELi1ELi4EEviiiPKT0_S5_PT_PKfS9_ii,@object ; @__PRETTY_FUNCTION__._Z17wvSplitKQ_hf_sml_I6__halfN3c1013Float8_e4m3fnELi64ELi4ELi16ELi16ELi1ELi4EEviiiPKT0_S5_PT_PKfS9_ii
__PRETTY_FUNCTION__._Z17wvSplitKQ_hf_sml_I6__halfN3c1013Float8_e4m3fnELi64ELi4ELi16ELi16ELi1ELi4EEviiiPKT0_S5_PT_PKfS9_ii:
	.asciz	"void wvSplitKQ_hf_sml_(const int, const int, const int, const fp8_t *, const fp8_t *__restrict, scalar_t *, const float *__restrict, const float *__restrict, const int, const int) [scalar_t = __half, fp8_t = c10::Float8_e4m3fn, THRDS = 64, YTILE = 4, WvPrGrp = 16, A_CHUNK = 16, UNRL = 1, N = 4]"
	.size	__PRETTY_FUNCTION__._Z17wvSplitKQ_hf_sml_I6__halfN3c1013Float8_e4m3fnELi64ELi4ELi16ELi16ELi1ELi4EEviiiPKT0_S5_PT_PKfS9_ii, 296

	.type	__PRETTY_FUNCTION__._Z13wvSplitKQ_hf_I6__halfN3c1013Float8_e4m3fnELi64ELi7ELi16ELi16ELi1ELi4EEviiiPKT0_S5_PT_PKfS9_ii,@object ; @__PRETTY_FUNCTION__._Z13wvSplitKQ_hf_I6__halfN3c1013Float8_e4m3fnELi64ELi7ELi16ELi16ELi1ELi4EEviiiPKT0_S5_PT_PKfS9_ii
__PRETTY_FUNCTION__._Z13wvSplitKQ_hf_I6__halfN3c1013Float8_e4m3fnELi64ELi7ELi16ELi16ELi1ELi4EEviiiPKT0_S5_PT_PKfS9_ii:
	.asciz	"void wvSplitKQ_hf_(const int, const int, const int, const fp8_t *, const fp8_t *__restrict, scalar_t *, const float *__restrict, const float *__restrict, const int, const int) [scalar_t = __half, fp8_t = c10::Float8_e4m3fn, THRDS = 64, YTILE = 7, WvPrGrp = 16, A_CHUNK = 16, UNRL = 1, N = 4]"
	.size	__PRETTY_FUNCTION__._Z13wvSplitKQ_hf_I6__halfN3c1013Float8_e4m3fnELi64ELi7ELi16ELi16ELi1ELi4EEviiiPKT0_S5_PT_PKfS9_ii, 292

	.type	__PRETTY_FUNCTION__._Z17wvSplitKQ_hf_sml_I6__halfN3c1015Float8_e4m3fnuzELi64ELi2ELi16ELi16ELi2ELi1EEviiiPKT0_S5_PT_PKfS9_ii,@object ; @__PRETTY_FUNCTION__._Z17wvSplitKQ_hf_sml_I6__halfN3c1015Float8_e4m3fnuzELi64ELi2ELi16ELi16ELi2ELi1EEviiiPKT0_S5_PT_PKfS9_ii
__PRETTY_FUNCTION__._Z17wvSplitKQ_hf_sml_I6__halfN3c1015Float8_e4m3fnuzELi64ELi2ELi16ELi16ELi2ELi1EEviiiPKT0_S5_PT_PKfS9_ii:
	.asciz	"void wvSplitKQ_hf_sml_(const int, const int, const int, const fp8_t *, const fp8_t *__restrict, scalar_t *, const float *__restrict, const float *__restrict, const int, const int) [scalar_t = __half, fp8_t = c10::Float8_e4m3fnuz, THRDS = 64, YTILE = 2, WvPrGrp = 16, A_CHUNK = 16, UNRL = 2, N = 1]"
	.size	__PRETTY_FUNCTION__._Z17wvSplitKQ_hf_sml_I6__halfN3c1015Float8_e4m3fnuzELi64ELi2ELi16ELi16ELi2ELi1EEviiiPKT0_S5_PT_PKfS9_ii, 298

	.type	__PRETTY_FUNCTION__._Z13wvSplitKQ_hf_I6__halfN3c1015Float8_e4m3fnuzELi64ELi2ELi16ELi16ELi2ELi1EEviiiPKT0_S5_PT_PKfS9_ii,@object ; @__PRETTY_FUNCTION__._Z13wvSplitKQ_hf_I6__halfN3c1015Float8_e4m3fnuzELi64ELi2ELi16ELi16ELi2ELi1EEviiiPKT0_S5_PT_PKfS9_ii
__PRETTY_FUNCTION__._Z13wvSplitKQ_hf_I6__halfN3c1015Float8_e4m3fnuzELi64ELi2ELi16ELi16ELi2ELi1EEviiiPKT0_S5_PT_PKfS9_ii:
	.asciz	"void wvSplitKQ_hf_(const int, const int, const int, const fp8_t *, const fp8_t *__restrict, scalar_t *, const float *__restrict, const float *__restrict, const int, const int) [scalar_t = __half, fp8_t = c10::Float8_e4m3fnuz, THRDS = 64, YTILE = 2, WvPrGrp = 16, A_CHUNK = 16, UNRL = 2, N = 1]"
	.size	__PRETTY_FUNCTION__._Z13wvSplitKQ_hf_I6__halfN3c1015Float8_e4m3fnuzELi64ELi2ELi16ELi16ELi2ELi1EEviiiPKT0_S5_PT_PKfS9_ii, 294

	.type	__PRETTY_FUNCTION__._Z17wvSplitKQ_hf_sml_I6__halfN3c1015Float8_e4m3fnuzELi64ELi2ELi16ELi16ELi2ELi2EEviiiPKT0_S5_PT_PKfS9_ii,@object ; @__PRETTY_FUNCTION__._Z17wvSplitKQ_hf_sml_I6__halfN3c1015Float8_e4m3fnuzELi64ELi2ELi16ELi16ELi2ELi2EEviiiPKT0_S5_PT_PKfS9_ii
__PRETTY_FUNCTION__._Z17wvSplitKQ_hf_sml_I6__halfN3c1015Float8_e4m3fnuzELi64ELi2ELi16ELi16ELi2ELi2EEviiiPKT0_S5_PT_PKfS9_ii:
	.asciz	"void wvSplitKQ_hf_sml_(const int, const int, const int, const fp8_t *, const fp8_t *__restrict, scalar_t *, const float *__restrict, const float *__restrict, const int, const int) [scalar_t = __half, fp8_t = c10::Float8_e4m3fnuz, THRDS = 64, YTILE = 2, WvPrGrp = 16, A_CHUNK = 16, UNRL = 2, N = 2]"
	.size	__PRETTY_FUNCTION__._Z17wvSplitKQ_hf_sml_I6__halfN3c1015Float8_e4m3fnuzELi64ELi2ELi16ELi16ELi2ELi2EEviiiPKT0_S5_PT_PKfS9_ii, 298

	.type	__PRETTY_FUNCTION__._Z13wvSplitKQ_hf_I6__halfN3c1015Float8_e4m3fnuzELi64ELi2ELi16ELi16ELi2ELi2EEviiiPKT0_S5_PT_PKfS9_ii,@object ; @__PRETTY_FUNCTION__._Z13wvSplitKQ_hf_I6__halfN3c1015Float8_e4m3fnuzELi64ELi2ELi16ELi16ELi2ELi2EEviiiPKT0_S5_PT_PKfS9_ii
__PRETTY_FUNCTION__._Z13wvSplitKQ_hf_I6__halfN3c1015Float8_e4m3fnuzELi64ELi2ELi16ELi16ELi2ELi2EEviiiPKT0_S5_PT_PKfS9_ii:
	.asciz	"void wvSplitKQ_hf_(const int, const int, const int, const fp8_t *, const fp8_t *__restrict, scalar_t *, const float *__restrict, const float *__restrict, const int, const int) [scalar_t = __half, fp8_t = c10::Float8_e4m3fnuz, THRDS = 64, YTILE = 2, WvPrGrp = 16, A_CHUNK = 16, UNRL = 2, N = 2]"
	.size	__PRETTY_FUNCTION__._Z13wvSplitKQ_hf_I6__halfN3c1015Float8_e4m3fnuzELi64ELi2ELi16ELi16ELi2ELi2EEviiiPKT0_S5_PT_PKfS9_ii, 294

	.type	__PRETTY_FUNCTION__._Z17wvSplitKQ_hf_sml_I6__halfN3c1015Float8_e4m3fnuzELi64ELi4ELi16ELi16ELi1ELi3EEviiiPKT0_S5_PT_PKfS9_ii,@object ; @__PRETTY_FUNCTION__._Z17wvSplitKQ_hf_sml_I6__halfN3c1015Float8_e4m3fnuzELi64ELi4ELi16ELi16ELi1ELi3EEviiiPKT0_S5_PT_PKfS9_ii
__PRETTY_FUNCTION__._Z17wvSplitKQ_hf_sml_I6__halfN3c1015Float8_e4m3fnuzELi64ELi4ELi16ELi16ELi1ELi3EEviiiPKT0_S5_PT_PKfS9_ii:
	.asciz	"void wvSplitKQ_hf_sml_(const int, const int, const int, const fp8_t *, const fp8_t *__restrict, scalar_t *, const float *__restrict, const float *__restrict, const int, const int) [scalar_t = __half, fp8_t = c10::Float8_e4m3fnuz, THRDS = 64, YTILE = 4, WvPrGrp = 16, A_CHUNK = 16, UNRL = 1, N = 3]"
	.size	__PRETTY_FUNCTION__._Z17wvSplitKQ_hf_sml_I6__halfN3c1015Float8_e4m3fnuzELi64ELi4ELi16ELi16ELi1ELi3EEviiiPKT0_S5_PT_PKfS9_ii, 298

	.type	__PRETTY_FUNCTION__._Z13wvSplitKQ_hf_I6__halfN3c1015Float8_e4m3fnuzELi64ELi7ELi16ELi16ELi1ELi3EEviiiPKT0_S5_PT_PKfS9_ii,@object ; @__PRETTY_FUNCTION__._Z13wvSplitKQ_hf_I6__halfN3c1015Float8_e4m3fnuzELi64ELi7ELi16ELi16ELi1ELi3EEviiiPKT0_S5_PT_PKfS9_ii
__PRETTY_FUNCTION__._Z13wvSplitKQ_hf_I6__halfN3c1015Float8_e4m3fnuzELi64ELi7ELi16ELi16ELi1ELi3EEviiiPKT0_S5_PT_PKfS9_ii:
	.asciz	"void wvSplitKQ_hf_(const int, const int, const int, const fp8_t *, const fp8_t *__restrict, scalar_t *, const float *__restrict, const float *__restrict, const int, const int) [scalar_t = __half, fp8_t = c10::Float8_e4m3fnuz, THRDS = 64, YTILE = 7, WvPrGrp = 16, A_CHUNK = 16, UNRL = 1, N = 3]"
	.size	__PRETTY_FUNCTION__._Z13wvSplitKQ_hf_I6__halfN3c1015Float8_e4m3fnuzELi64ELi7ELi16ELi16ELi1ELi3EEviiiPKT0_S5_PT_PKfS9_ii, 294

	.type	__PRETTY_FUNCTION__._Z17wvSplitKQ_hf_sml_I6__halfN3c1015Float8_e4m3fnuzELi64ELi4ELi16ELi16ELi1ELi4EEviiiPKT0_S5_PT_PKfS9_ii,@object ; @__PRETTY_FUNCTION__._Z17wvSplitKQ_hf_sml_I6__halfN3c1015Float8_e4m3fnuzELi64ELi4ELi16ELi16ELi1ELi4EEviiiPKT0_S5_PT_PKfS9_ii
__PRETTY_FUNCTION__._Z17wvSplitKQ_hf_sml_I6__halfN3c1015Float8_e4m3fnuzELi64ELi4ELi16ELi16ELi1ELi4EEviiiPKT0_S5_PT_PKfS9_ii:
	.asciz	"void wvSplitKQ_hf_sml_(const int, const int, const int, const fp8_t *, const fp8_t *__restrict, scalar_t *, const float *__restrict, const float *__restrict, const int, const int) [scalar_t = __half, fp8_t = c10::Float8_e4m3fnuz, THRDS = 64, YTILE = 4, WvPrGrp = 16, A_CHUNK = 16, UNRL = 1, N = 4]"
	.size	__PRETTY_FUNCTION__._Z17wvSplitKQ_hf_sml_I6__halfN3c1015Float8_e4m3fnuzELi64ELi4ELi16ELi16ELi1ELi4EEviiiPKT0_S5_PT_PKfS9_ii, 298

	.type	__PRETTY_FUNCTION__._Z13wvSplitKQ_hf_I6__halfN3c1015Float8_e4m3fnuzELi64ELi7ELi16ELi16ELi1ELi4EEviiiPKT0_S5_PT_PKfS9_ii,@object ; @__PRETTY_FUNCTION__._Z13wvSplitKQ_hf_I6__halfN3c1015Float8_e4m3fnuzELi64ELi7ELi16ELi16ELi1ELi4EEviiiPKT0_S5_PT_PKfS9_ii
__PRETTY_FUNCTION__._Z13wvSplitKQ_hf_I6__halfN3c1015Float8_e4m3fnuzELi64ELi7ELi16ELi16ELi1ELi4EEviiiPKT0_S5_PT_PKfS9_ii:
	.asciz	"void wvSplitKQ_hf_(const int, const int, const int, const fp8_t *, const fp8_t *__restrict, scalar_t *, const float *__restrict, const float *__restrict, const int, const int) [scalar_t = __half, fp8_t = c10::Float8_e4m3fnuz, THRDS = 64, YTILE = 7, WvPrGrp = 16, A_CHUNK = 16, UNRL = 1, N = 4]"
	.size	__PRETTY_FUNCTION__._Z13wvSplitKQ_hf_I6__halfN3c1015Float8_e4m3fnuzELi64ELi7ELi16ELi16ELi1ELi4EEviiiPKT0_S5_PT_PKfS9_ii, 294

	.type	__PRETTY_FUNCTION__._Z17wvSplitKQ_hf_sml_I14__hip_bfloat16N3c1013Float8_e4m3fnELi64ELi2ELi16ELi16ELi2ELi1EEviiiPKT0_S5_PT_PKfS9_ii,@object ; @__PRETTY_FUNCTION__._Z17wvSplitKQ_hf_sml_I14__hip_bfloat16N3c1013Float8_e4m3fnELi64ELi2ELi16ELi16ELi2ELi1EEviiiPKT0_S5_PT_PKfS9_ii
__PRETTY_FUNCTION__._Z17wvSplitKQ_hf_sml_I14__hip_bfloat16N3c1013Float8_e4m3fnELi64ELi2ELi16ELi16ELi2ELi1EEviiiPKT0_S5_PT_PKfS9_ii:
	.asciz	"void wvSplitKQ_hf_sml_(const int, const int, const int, const fp8_t *, const fp8_t *__restrict, scalar_t *, const float *__restrict, const float *__restrict, const int, const int) [scalar_t = __hip_bfloat16, fp8_t = c10::Float8_e4m3fn, THRDS = 64, YTILE = 2, WvPrGrp = 16, A_CHUNK = 16, UNRL = 2, N = 1]"
	.size	__PRETTY_FUNCTION__._Z17wvSplitKQ_hf_sml_I14__hip_bfloat16N3c1013Float8_e4m3fnELi64ELi2ELi16ELi16ELi2ELi1EEviiiPKT0_S5_PT_PKfS9_ii, 304

	.type	__PRETTY_FUNCTION__._Z13wvSplitKQ_hf_I14__hip_bfloat16N3c1013Float8_e4m3fnELi64ELi2ELi16ELi16ELi2ELi1EEviiiPKT0_S5_PT_PKfS9_ii,@object ; @__PRETTY_FUNCTION__._Z13wvSplitKQ_hf_I14__hip_bfloat16N3c1013Float8_e4m3fnELi64ELi2ELi16ELi16ELi2ELi1EEviiiPKT0_S5_PT_PKfS9_ii
__PRETTY_FUNCTION__._Z13wvSplitKQ_hf_I14__hip_bfloat16N3c1013Float8_e4m3fnELi64ELi2ELi16ELi16ELi2ELi1EEviiiPKT0_S5_PT_PKfS9_ii:
	.asciz	"void wvSplitKQ_hf_(const int, const int, const int, const fp8_t *, const fp8_t *__restrict, scalar_t *, const float *__restrict, const float *__restrict, const int, const int) [scalar_t = __hip_bfloat16, fp8_t = c10::Float8_e4m3fn, THRDS = 64, YTILE = 2, WvPrGrp = 16, A_CHUNK = 16, UNRL = 2, N = 1]"
	.size	__PRETTY_FUNCTION__._Z13wvSplitKQ_hf_I14__hip_bfloat16N3c1013Float8_e4m3fnELi64ELi2ELi16ELi16ELi2ELi1EEviiiPKT0_S5_PT_PKfS9_ii, 300

	.type	__PRETTY_FUNCTION__._Z17wvSplitKQ_hf_sml_I14__hip_bfloat16N3c1013Float8_e4m3fnELi64ELi2ELi16ELi16ELi2ELi2EEviiiPKT0_S5_PT_PKfS9_ii,@object ; @__PRETTY_FUNCTION__._Z17wvSplitKQ_hf_sml_I14__hip_bfloat16N3c1013Float8_e4m3fnELi64ELi2ELi16ELi16ELi2ELi2EEviiiPKT0_S5_PT_PKfS9_ii
__PRETTY_FUNCTION__._Z17wvSplitKQ_hf_sml_I14__hip_bfloat16N3c1013Float8_e4m3fnELi64ELi2ELi16ELi16ELi2ELi2EEviiiPKT0_S5_PT_PKfS9_ii:
	.asciz	"void wvSplitKQ_hf_sml_(const int, const int, const int, const fp8_t *, const fp8_t *__restrict, scalar_t *, const float *__restrict, const float *__restrict, const int, const int) [scalar_t = __hip_bfloat16, fp8_t = c10::Float8_e4m3fn, THRDS = 64, YTILE = 2, WvPrGrp = 16, A_CHUNK = 16, UNRL = 2, N = 2]"
	.size	__PRETTY_FUNCTION__._Z17wvSplitKQ_hf_sml_I14__hip_bfloat16N3c1013Float8_e4m3fnELi64ELi2ELi16ELi16ELi2ELi2EEviiiPKT0_S5_PT_PKfS9_ii, 304

	.type	__PRETTY_FUNCTION__._Z13wvSplitKQ_hf_I14__hip_bfloat16N3c1013Float8_e4m3fnELi64ELi2ELi16ELi16ELi2ELi2EEviiiPKT0_S5_PT_PKfS9_ii,@object ; @__PRETTY_FUNCTION__._Z13wvSplitKQ_hf_I14__hip_bfloat16N3c1013Float8_e4m3fnELi64ELi2ELi16ELi16ELi2ELi2EEviiiPKT0_S5_PT_PKfS9_ii
__PRETTY_FUNCTION__._Z13wvSplitKQ_hf_I14__hip_bfloat16N3c1013Float8_e4m3fnELi64ELi2ELi16ELi16ELi2ELi2EEviiiPKT0_S5_PT_PKfS9_ii:
	.asciz	"void wvSplitKQ_hf_(const int, const int, const int, const fp8_t *, const fp8_t *__restrict, scalar_t *, const float *__restrict, const float *__restrict, const int, const int) [scalar_t = __hip_bfloat16, fp8_t = c10::Float8_e4m3fn, THRDS = 64, YTILE = 2, WvPrGrp = 16, A_CHUNK = 16, UNRL = 2, N = 2]"
	.size	__PRETTY_FUNCTION__._Z13wvSplitKQ_hf_I14__hip_bfloat16N3c1013Float8_e4m3fnELi64ELi2ELi16ELi16ELi2ELi2EEviiiPKT0_S5_PT_PKfS9_ii, 300

	.type	__PRETTY_FUNCTION__._Z17wvSplitKQ_hf_sml_I14__hip_bfloat16N3c1013Float8_e4m3fnELi64ELi4ELi16ELi16ELi1ELi3EEviiiPKT0_S5_PT_PKfS9_ii,@object ; @__PRETTY_FUNCTION__._Z17wvSplitKQ_hf_sml_I14__hip_bfloat16N3c1013Float8_e4m3fnELi64ELi4ELi16ELi16ELi1ELi3EEviiiPKT0_S5_PT_PKfS9_ii
__PRETTY_FUNCTION__._Z17wvSplitKQ_hf_sml_I14__hip_bfloat16N3c1013Float8_e4m3fnELi64ELi4ELi16ELi16ELi1ELi3EEviiiPKT0_S5_PT_PKfS9_ii:
	.asciz	"void wvSplitKQ_hf_sml_(const int, const int, const int, const fp8_t *, const fp8_t *__restrict, scalar_t *, const float *__restrict, const float *__restrict, const int, const int) [scalar_t = __hip_bfloat16, fp8_t = c10::Float8_e4m3fn, THRDS = 64, YTILE = 4, WvPrGrp = 16, A_CHUNK = 16, UNRL = 1, N = 3]"
	.size	__PRETTY_FUNCTION__._Z17wvSplitKQ_hf_sml_I14__hip_bfloat16N3c1013Float8_e4m3fnELi64ELi4ELi16ELi16ELi1ELi3EEviiiPKT0_S5_PT_PKfS9_ii, 304

	.type	__PRETTY_FUNCTION__._Z13wvSplitKQ_hf_I14__hip_bfloat16N3c1013Float8_e4m3fnELi64ELi7ELi16ELi16ELi1ELi3EEviiiPKT0_S5_PT_PKfS9_ii,@object ; @__PRETTY_FUNCTION__._Z13wvSplitKQ_hf_I14__hip_bfloat16N3c1013Float8_e4m3fnELi64ELi7ELi16ELi16ELi1ELi3EEviiiPKT0_S5_PT_PKfS9_ii
__PRETTY_FUNCTION__._Z13wvSplitKQ_hf_I14__hip_bfloat16N3c1013Float8_e4m3fnELi64ELi7ELi16ELi16ELi1ELi3EEviiiPKT0_S5_PT_PKfS9_ii:
	.asciz	"void wvSplitKQ_hf_(const int, const int, const int, const fp8_t *, const fp8_t *__restrict, scalar_t *, const float *__restrict, const float *__restrict, const int, const int) [scalar_t = __hip_bfloat16, fp8_t = c10::Float8_e4m3fn, THRDS = 64, YTILE = 7, WvPrGrp = 16, A_CHUNK = 16, UNRL = 1, N = 3]"
	.size	__PRETTY_FUNCTION__._Z13wvSplitKQ_hf_I14__hip_bfloat16N3c1013Float8_e4m3fnELi64ELi7ELi16ELi16ELi1ELi3EEviiiPKT0_S5_PT_PKfS9_ii, 300

	.type	__PRETTY_FUNCTION__._Z17wvSplitKQ_hf_sml_I14__hip_bfloat16N3c1013Float8_e4m3fnELi64ELi4ELi16ELi16ELi1ELi4EEviiiPKT0_S5_PT_PKfS9_ii,@object ; @__PRETTY_FUNCTION__._Z17wvSplitKQ_hf_sml_I14__hip_bfloat16N3c1013Float8_e4m3fnELi64ELi4ELi16ELi16ELi1ELi4EEviiiPKT0_S5_PT_PKfS9_ii
__PRETTY_FUNCTION__._Z17wvSplitKQ_hf_sml_I14__hip_bfloat16N3c1013Float8_e4m3fnELi64ELi4ELi16ELi16ELi1ELi4EEviiiPKT0_S5_PT_PKfS9_ii:
	.asciz	"void wvSplitKQ_hf_sml_(const int, const int, const int, const fp8_t *, const fp8_t *__restrict, scalar_t *, const float *__restrict, const float *__restrict, const int, const int) [scalar_t = __hip_bfloat16, fp8_t = c10::Float8_e4m3fn, THRDS = 64, YTILE = 4, WvPrGrp = 16, A_CHUNK = 16, UNRL = 1, N = 4]"
	.size	__PRETTY_FUNCTION__._Z17wvSplitKQ_hf_sml_I14__hip_bfloat16N3c1013Float8_e4m3fnELi64ELi4ELi16ELi16ELi1ELi4EEviiiPKT0_S5_PT_PKfS9_ii, 304

	.type	__PRETTY_FUNCTION__._Z13wvSplitKQ_hf_I14__hip_bfloat16N3c1013Float8_e4m3fnELi64ELi7ELi16ELi16ELi1ELi4EEviiiPKT0_S5_PT_PKfS9_ii,@object ; @__PRETTY_FUNCTION__._Z13wvSplitKQ_hf_I14__hip_bfloat16N3c1013Float8_e4m3fnELi64ELi7ELi16ELi16ELi1ELi4EEviiiPKT0_S5_PT_PKfS9_ii
__PRETTY_FUNCTION__._Z13wvSplitKQ_hf_I14__hip_bfloat16N3c1013Float8_e4m3fnELi64ELi7ELi16ELi16ELi1ELi4EEviiiPKT0_S5_PT_PKfS9_ii:
	.asciz	"void wvSplitKQ_hf_(const int, const int, const int, const fp8_t *, const fp8_t *__restrict, scalar_t *, const float *__restrict, const float *__restrict, const int, const int) [scalar_t = __hip_bfloat16, fp8_t = c10::Float8_e4m3fn, THRDS = 64, YTILE = 7, WvPrGrp = 16, A_CHUNK = 16, UNRL = 1, N = 4]"
	.size	__PRETTY_FUNCTION__._Z13wvSplitKQ_hf_I14__hip_bfloat16N3c1013Float8_e4m3fnELi64ELi7ELi16ELi16ELi1ELi4EEviiiPKT0_S5_PT_PKfS9_ii, 300

	.type	__PRETTY_FUNCTION__._Z17wvSplitKQ_hf_sml_I14__hip_bfloat16N3c1015Float8_e4m3fnuzELi64ELi2ELi16ELi16ELi2ELi1EEviiiPKT0_S5_PT_PKfS9_ii,@object ; @__PRETTY_FUNCTION__._Z17wvSplitKQ_hf_sml_I14__hip_bfloat16N3c1015Float8_e4m3fnuzELi64ELi2ELi16ELi16ELi2ELi1EEviiiPKT0_S5_PT_PKfS9_ii
__PRETTY_FUNCTION__._Z17wvSplitKQ_hf_sml_I14__hip_bfloat16N3c1015Float8_e4m3fnuzELi64ELi2ELi16ELi16ELi2ELi1EEviiiPKT0_S5_PT_PKfS9_ii:
	.asciz	"void wvSplitKQ_hf_sml_(const int, const int, const int, const fp8_t *, const fp8_t *__restrict, scalar_t *, const float *__restrict, const float *__restrict, const int, const int) [scalar_t = __hip_bfloat16, fp8_t = c10::Float8_e4m3fnuz, THRDS = 64, YTILE = 2, WvPrGrp = 16, A_CHUNK = 16, UNRL = 2, N = 1]"
	.size	__PRETTY_FUNCTION__._Z17wvSplitKQ_hf_sml_I14__hip_bfloat16N3c1015Float8_e4m3fnuzELi64ELi2ELi16ELi16ELi2ELi1EEviiiPKT0_S5_PT_PKfS9_ii, 306

	.type	__PRETTY_FUNCTION__._Z13wvSplitKQ_hf_I14__hip_bfloat16N3c1015Float8_e4m3fnuzELi64ELi2ELi16ELi16ELi2ELi1EEviiiPKT0_S5_PT_PKfS9_ii,@object ; @__PRETTY_FUNCTION__._Z13wvSplitKQ_hf_I14__hip_bfloat16N3c1015Float8_e4m3fnuzELi64ELi2ELi16ELi16ELi2ELi1EEviiiPKT0_S5_PT_PKfS9_ii
__PRETTY_FUNCTION__._Z13wvSplitKQ_hf_I14__hip_bfloat16N3c1015Float8_e4m3fnuzELi64ELi2ELi16ELi16ELi2ELi1EEviiiPKT0_S5_PT_PKfS9_ii:
	.asciz	"void wvSplitKQ_hf_(const int, const int, const int, const fp8_t *, const fp8_t *__restrict, scalar_t *, const float *__restrict, const float *__restrict, const int, const int) [scalar_t = __hip_bfloat16, fp8_t = c10::Float8_e4m3fnuz, THRDS = 64, YTILE = 2, WvPrGrp = 16, A_CHUNK = 16, UNRL = 2, N = 1]"
	.size	__PRETTY_FUNCTION__._Z13wvSplitKQ_hf_I14__hip_bfloat16N3c1015Float8_e4m3fnuzELi64ELi2ELi16ELi16ELi2ELi1EEviiiPKT0_S5_PT_PKfS9_ii, 302

	.type	__PRETTY_FUNCTION__._Z17wvSplitKQ_hf_sml_I14__hip_bfloat16N3c1015Float8_e4m3fnuzELi64ELi2ELi16ELi16ELi2ELi2EEviiiPKT0_S5_PT_PKfS9_ii,@object ; @__PRETTY_FUNCTION__._Z17wvSplitKQ_hf_sml_I14__hip_bfloat16N3c1015Float8_e4m3fnuzELi64ELi2ELi16ELi16ELi2ELi2EEviiiPKT0_S5_PT_PKfS9_ii
__PRETTY_FUNCTION__._Z17wvSplitKQ_hf_sml_I14__hip_bfloat16N3c1015Float8_e4m3fnuzELi64ELi2ELi16ELi16ELi2ELi2EEviiiPKT0_S5_PT_PKfS9_ii:
	.asciz	"void wvSplitKQ_hf_sml_(const int, const int, const int, const fp8_t *, const fp8_t *__restrict, scalar_t *, const float *__restrict, const float *__restrict, const int, const int) [scalar_t = __hip_bfloat16, fp8_t = c10::Float8_e4m3fnuz, THRDS = 64, YTILE = 2, WvPrGrp = 16, A_CHUNK = 16, UNRL = 2, N = 2]"
	.size	__PRETTY_FUNCTION__._Z17wvSplitKQ_hf_sml_I14__hip_bfloat16N3c1015Float8_e4m3fnuzELi64ELi2ELi16ELi16ELi2ELi2EEviiiPKT0_S5_PT_PKfS9_ii, 306

	.type	__PRETTY_FUNCTION__._Z13wvSplitKQ_hf_I14__hip_bfloat16N3c1015Float8_e4m3fnuzELi64ELi2ELi16ELi16ELi2ELi2EEviiiPKT0_S5_PT_PKfS9_ii,@object ; @__PRETTY_FUNCTION__._Z13wvSplitKQ_hf_I14__hip_bfloat16N3c1015Float8_e4m3fnuzELi64ELi2ELi16ELi16ELi2ELi2EEviiiPKT0_S5_PT_PKfS9_ii
__PRETTY_FUNCTION__._Z13wvSplitKQ_hf_I14__hip_bfloat16N3c1015Float8_e4m3fnuzELi64ELi2ELi16ELi16ELi2ELi2EEviiiPKT0_S5_PT_PKfS9_ii:
	.asciz	"void wvSplitKQ_hf_(const int, const int, const int, const fp8_t *, const fp8_t *__restrict, scalar_t *, const float *__restrict, const float *__restrict, const int, const int) [scalar_t = __hip_bfloat16, fp8_t = c10::Float8_e4m3fnuz, THRDS = 64, YTILE = 2, WvPrGrp = 16, A_CHUNK = 16, UNRL = 2, N = 2]"
	.size	__PRETTY_FUNCTION__._Z13wvSplitKQ_hf_I14__hip_bfloat16N3c1015Float8_e4m3fnuzELi64ELi2ELi16ELi16ELi2ELi2EEviiiPKT0_S5_PT_PKfS9_ii, 302

	.type	__PRETTY_FUNCTION__._Z17wvSplitKQ_hf_sml_I14__hip_bfloat16N3c1015Float8_e4m3fnuzELi64ELi4ELi16ELi16ELi1ELi3EEviiiPKT0_S5_PT_PKfS9_ii,@object ; @__PRETTY_FUNCTION__._Z17wvSplitKQ_hf_sml_I14__hip_bfloat16N3c1015Float8_e4m3fnuzELi64ELi4ELi16ELi16ELi1ELi3EEviiiPKT0_S5_PT_PKfS9_ii
__PRETTY_FUNCTION__._Z17wvSplitKQ_hf_sml_I14__hip_bfloat16N3c1015Float8_e4m3fnuzELi64ELi4ELi16ELi16ELi1ELi3EEviiiPKT0_S5_PT_PKfS9_ii:
	.asciz	"void wvSplitKQ_hf_sml_(const int, const int, const int, const fp8_t *, const fp8_t *__restrict, scalar_t *, const float *__restrict, const float *__restrict, const int, const int) [scalar_t = __hip_bfloat16, fp8_t = c10::Float8_e4m3fnuz, THRDS = 64, YTILE = 4, WvPrGrp = 16, A_CHUNK = 16, UNRL = 1, N = 3]"
	.size	__PRETTY_FUNCTION__._Z17wvSplitKQ_hf_sml_I14__hip_bfloat16N3c1015Float8_e4m3fnuzELi64ELi4ELi16ELi16ELi1ELi3EEviiiPKT0_S5_PT_PKfS9_ii, 306

	.type	__PRETTY_FUNCTION__._Z13wvSplitKQ_hf_I14__hip_bfloat16N3c1015Float8_e4m3fnuzELi64ELi7ELi16ELi16ELi1ELi3EEviiiPKT0_S5_PT_PKfS9_ii,@object ; @__PRETTY_FUNCTION__._Z13wvSplitKQ_hf_I14__hip_bfloat16N3c1015Float8_e4m3fnuzELi64ELi7ELi16ELi16ELi1ELi3EEviiiPKT0_S5_PT_PKfS9_ii
__PRETTY_FUNCTION__._Z13wvSplitKQ_hf_I14__hip_bfloat16N3c1015Float8_e4m3fnuzELi64ELi7ELi16ELi16ELi1ELi3EEviiiPKT0_S5_PT_PKfS9_ii:
	.asciz	"void wvSplitKQ_hf_(const int, const int, const int, const fp8_t *, const fp8_t *__restrict, scalar_t *, const float *__restrict, const float *__restrict, const int, const int) [scalar_t = __hip_bfloat16, fp8_t = c10::Float8_e4m3fnuz, THRDS = 64, YTILE = 7, WvPrGrp = 16, A_CHUNK = 16, UNRL = 1, N = 3]"
	.size	__PRETTY_FUNCTION__._Z13wvSplitKQ_hf_I14__hip_bfloat16N3c1015Float8_e4m3fnuzELi64ELi7ELi16ELi16ELi1ELi3EEviiiPKT0_S5_PT_PKfS9_ii, 302

	.type	__PRETTY_FUNCTION__._Z17wvSplitKQ_hf_sml_I14__hip_bfloat16N3c1015Float8_e4m3fnuzELi64ELi4ELi16ELi16ELi1ELi4EEviiiPKT0_S5_PT_PKfS9_ii,@object ; @__PRETTY_FUNCTION__._Z17wvSplitKQ_hf_sml_I14__hip_bfloat16N3c1015Float8_e4m3fnuzELi64ELi4ELi16ELi16ELi1ELi4EEviiiPKT0_S5_PT_PKfS9_ii
__PRETTY_FUNCTION__._Z17wvSplitKQ_hf_sml_I14__hip_bfloat16N3c1015Float8_e4m3fnuzELi64ELi4ELi16ELi16ELi1ELi4EEviiiPKT0_S5_PT_PKfS9_ii:
	.asciz	"void wvSplitKQ_hf_sml_(const int, const int, const int, const fp8_t *, const fp8_t *__restrict, scalar_t *, const float *__restrict, const float *__restrict, const int, const int) [scalar_t = __hip_bfloat16, fp8_t = c10::Float8_e4m3fnuz, THRDS = 64, YTILE = 4, WvPrGrp = 16, A_CHUNK = 16, UNRL = 1, N = 4]"
	.size	__PRETTY_FUNCTION__._Z17wvSplitKQ_hf_sml_I14__hip_bfloat16N3c1015Float8_e4m3fnuzELi64ELi4ELi16ELi16ELi1ELi4EEviiiPKT0_S5_PT_PKfS9_ii, 306

	.type	__PRETTY_FUNCTION__._Z13wvSplitKQ_hf_I14__hip_bfloat16N3c1015Float8_e4m3fnuzELi64ELi7ELi16ELi16ELi1ELi4EEviiiPKT0_S5_PT_PKfS9_ii,@object ; @__PRETTY_FUNCTION__._Z13wvSplitKQ_hf_I14__hip_bfloat16N3c1015Float8_e4m3fnuzELi64ELi7ELi16ELi16ELi1ELi4EEviiiPKT0_S5_PT_PKfS9_ii
__PRETTY_FUNCTION__._Z13wvSplitKQ_hf_I14__hip_bfloat16N3c1015Float8_e4m3fnuzELi64ELi7ELi16ELi16ELi1ELi4EEviiiPKT0_S5_PT_PKfS9_ii:
	.asciz	"void wvSplitKQ_hf_(const int, const int, const int, const fp8_t *, const fp8_t *__restrict, scalar_t *, const float *__restrict, const float *__restrict, const int, const int) [scalar_t = __hip_bfloat16, fp8_t = c10::Float8_e4m3fnuz, THRDS = 64, YTILE = 7, WvPrGrp = 16, A_CHUNK = 16, UNRL = 1, N = 4]"
	.size	__PRETTY_FUNCTION__._Z13wvSplitKQ_hf_I14__hip_bfloat16N3c1015Float8_e4m3fnuzELi64ELi7ELi16ELi16ELi1ELi4EEviiiPKT0_S5_PT_PKfS9_ii, 302

	.type	__hip_cuid_8babc9ff034263b8,@object ; @__hip_cuid_8babc9ff034263b8
	.section	.bss,"aw",@nobits
	.globl	__hip_cuid_8babc9ff034263b8
__hip_cuid_8babc9ff034263b8:
	.byte	0                               ; 0x0
	.size	__hip_cuid_8babc9ff034263b8, 1

	.ident	"AMD clang version 22.0.0git (https://github.com/RadeonOpenCompute/llvm-project roc-7.2.4 26084 f58b06dce1f9c15707c5f808fd002e18c2accf7e)"
	.section	".note.GNU-stack","",@progbits
	.addrsig
	.addrsig_sym __hip_cuid_8babc9ff034263b8
	.amdgpu_metadata
---
amdhsa.kernels:
  - .args:
      - .address_space:  global
        .offset:         0
        .size:           8
        .value_kind:     global_buffer
      - .address_space:  global
        .offset:         8
        .size:           8
        .value_kind:     global_buffer
      - .address_space:  global
        .offset:         16
        .size:           8
        .value_kind:     global_buffer
      - .offset:         24
        .size:           4
        .value_kind:     by_value
      - .offset:         32
        .size:           4
        .value_kind:     hidden_block_count_x
      - .offset:         36
        .size:           4
        .value_kind:     hidden_block_count_y
      - .offset:         40
        .size:           4
        .value_kind:     hidden_block_count_z
      - .offset:         44
        .size:           2
        .value_kind:     hidden_group_size_x
      - .offset:         46
        .size:           2
        .value_kind:     hidden_group_size_y
      - .offset:         48
        .size:           2
        .value_kind:     hidden_group_size_z
      - .offset:         50
        .size:           2
        .value_kind:     hidden_remainder_x
      - .offset:         52
        .size:           2
        .value_kind:     hidden_remainder_y
      - .offset:         54
        .size:           2
        .value_kind:     hidden_remainder_z
      - .offset:         72
        .size:           8
        .value_kind:     hidden_global_offset_x
      - .offset:         80
        .size:           8
        .value_kind:     hidden_global_offset_y
      - .offset:         88
        .size:           8
        .value_kind:     hidden_global_offset_z
      - .offset:         96
        .size:           2
        .value_kind:     hidden_grid_dims
    .group_segment_fixed_size: 256
    .kernarg_segment_align: 8
    .kernarg_segment_size: 288
    .language:       OpenCL C
    .language_version:
      - 2
      - 0
    .max_flat_workgroup_size: 1024
    .name:           _Z14LLGemm1_kernelIN3c104HalfELi2EEvPKT_S4_PS2_i
    .private_segment_fixed_size: 0
    .sgpr_count:     15
    .sgpr_spill_count: 0
    .symbol:         _Z14LLGemm1_kernelIN3c104HalfELi2EEvPKT_S4_PS2_i.kd
    .uniform_work_group_size: 1
    .uses_dynamic_stack: false
    .vgpr_count:     18
    .vgpr_spill_count: 0
    .wavefront_size: 32
  - .args:
      - .address_space:  global
        .offset:         0
        .size:           8
        .value_kind:     global_buffer
      - .address_space:  global
        .offset:         8
        .size:           8
        .value_kind:     global_buffer
      - .address_space:  global
        .offset:         16
        .size:           8
        .value_kind:     global_buffer
      - .offset:         24
        .size:           4
        .value_kind:     by_value
      - .offset:         32
        .size:           4
        .value_kind:     hidden_block_count_x
      - .offset:         36
        .size:           4
        .value_kind:     hidden_block_count_y
      - .offset:         40
        .size:           4
        .value_kind:     hidden_block_count_z
      - .offset:         44
        .size:           2
        .value_kind:     hidden_group_size_x
      - .offset:         46
        .size:           2
        .value_kind:     hidden_group_size_y
      - .offset:         48
        .size:           2
        .value_kind:     hidden_group_size_z
      - .offset:         50
        .size:           2
        .value_kind:     hidden_remainder_x
      - .offset:         52
        .size:           2
        .value_kind:     hidden_remainder_y
      - .offset:         54
        .size:           2
        .value_kind:     hidden_remainder_z
      - .offset:         72
        .size:           8
        .value_kind:     hidden_global_offset_x
      - .offset:         80
        .size:           8
        .value_kind:     hidden_global_offset_y
      - .offset:         88
        .size:           8
        .value_kind:     hidden_global_offset_z
      - .offset:         96
        .size:           2
        .value_kind:     hidden_grid_dims
    .group_segment_fixed_size: 512
    .kernarg_segment_align: 8
    .kernarg_segment_size: 288
    .language:       OpenCL C
    .language_version:
      - 2
      - 0
    .max_flat_workgroup_size: 1024
    .name:           _Z14LLGemm1_kernelIN3c104HalfELi4EEvPKT_S4_PS2_i
    .private_segment_fixed_size: 0
    .sgpr_count:     15
    .sgpr_spill_count: 0
    .symbol:         _Z14LLGemm1_kernelIN3c104HalfELi4EEvPKT_S4_PS2_i.kd
    .uniform_work_group_size: 1
    .uses_dynamic_stack: false
    .vgpr_count:     27
    .vgpr_spill_count: 0
    .wavefront_size: 32
  - .args:
      - .address_space:  global
        .offset:         0
        .size:           8
        .value_kind:     global_buffer
      - .address_space:  global
        .offset:         8
        .size:           8
        .value_kind:     global_buffer
      - .address_space:  global
        .offset:         16
        .size:           8
        .value_kind:     global_buffer
      - .offset:         24
        .size:           4
        .value_kind:     by_value
      - .offset:         32
        .size:           4
        .value_kind:     hidden_block_count_x
      - .offset:         36
        .size:           4
        .value_kind:     hidden_block_count_y
      - .offset:         40
        .size:           4
        .value_kind:     hidden_block_count_z
      - .offset:         44
        .size:           2
        .value_kind:     hidden_group_size_x
      - .offset:         46
        .size:           2
        .value_kind:     hidden_group_size_y
      - .offset:         48
        .size:           2
        .value_kind:     hidden_group_size_z
      - .offset:         50
        .size:           2
        .value_kind:     hidden_remainder_x
      - .offset:         52
        .size:           2
        .value_kind:     hidden_remainder_y
      - .offset:         54
        .size:           2
        .value_kind:     hidden_remainder_z
      - .offset:         72
        .size:           8
        .value_kind:     hidden_global_offset_x
      - .offset:         80
        .size:           8
        .value_kind:     hidden_global_offset_y
      - .offset:         88
        .size:           8
        .value_kind:     hidden_global_offset_z
      - .offset:         96
        .size:           2
        .value_kind:     hidden_grid_dims
    .group_segment_fixed_size: 1024
    .kernarg_segment_align: 8
    .kernarg_segment_size: 288
    .language:       OpenCL C
    .language_version:
      - 2
      - 0
    .max_flat_workgroup_size: 1024
    .name:           _Z14LLGemm1_kernelIN3c104HalfELi8EEvPKT_S4_PS2_i
    .private_segment_fixed_size: 0
    .sgpr_count:     15
    .sgpr_spill_count: 0
    .symbol:         _Z14LLGemm1_kernelIN3c104HalfELi8EEvPKT_S4_PS2_i.kd
    .uniform_work_group_size: 1
    .uses_dynamic_stack: false
    .vgpr_count:     44
    .vgpr_spill_count: 0
    .wavefront_size: 32
  - .args:
      - .address_space:  global
        .offset:         0
        .size:           8
        .value_kind:     global_buffer
      - .address_space:  global
        .offset:         8
        .size:           8
        .value_kind:     global_buffer
      - .address_space:  global
        .offset:         16
        .size:           8
        .value_kind:     global_buffer
      - .offset:         24
        .size:           4
        .value_kind:     by_value
      - .offset:         32
        .size:           4
        .value_kind:     hidden_block_count_x
      - .offset:         36
        .size:           4
        .value_kind:     hidden_block_count_y
      - .offset:         40
        .size:           4
        .value_kind:     hidden_block_count_z
      - .offset:         44
        .size:           2
        .value_kind:     hidden_group_size_x
      - .offset:         46
        .size:           2
        .value_kind:     hidden_group_size_y
      - .offset:         48
        .size:           2
        .value_kind:     hidden_group_size_z
      - .offset:         50
        .size:           2
        .value_kind:     hidden_remainder_x
      - .offset:         52
        .size:           2
        .value_kind:     hidden_remainder_y
      - .offset:         54
        .size:           2
        .value_kind:     hidden_remainder_z
      - .offset:         72
        .size:           8
        .value_kind:     hidden_global_offset_x
      - .offset:         80
        .size:           8
        .value_kind:     hidden_global_offset_y
      - .offset:         88
        .size:           8
        .value_kind:     hidden_global_offset_z
      - .offset:         96
        .size:           2
        .value_kind:     hidden_grid_dims
    .group_segment_fixed_size: 2048
    .kernarg_segment_align: 8
    .kernarg_segment_size: 288
    .language:       OpenCL C
    .language_version:
      - 2
      - 0
    .max_flat_workgroup_size: 1024
    .name:           _Z14LLGemm1_kernelIN3c104HalfELi16EEvPKT_S4_PS2_i
    .private_segment_fixed_size: 0
    .sgpr_count:     15
    .sgpr_spill_count: 0
    .symbol:         _Z14LLGemm1_kernelIN3c104HalfELi16EEvPKT_S4_PS2_i.kd
    .uniform_work_group_size: 1
    .uses_dynamic_stack: false
    .vgpr_count:     70
    .vgpr_spill_count: 0
    .wavefront_size: 32
  - .args:
      - .address_space:  global
        .offset:         0
        .size:           8
        .value_kind:     global_buffer
      - .address_space:  global
        .offset:         8
        .size:           8
        .value_kind:     global_buffer
      - .address_space:  global
        .offset:         16
        .size:           8
        .value_kind:     global_buffer
      - .offset:         24
        .size:           4
        .value_kind:     by_value
      - .offset:         32
        .size:           4
        .value_kind:     hidden_block_count_x
      - .offset:         36
        .size:           4
        .value_kind:     hidden_block_count_y
      - .offset:         40
        .size:           4
        .value_kind:     hidden_block_count_z
      - .offset:         44
        .size:           2
        .value_kind:     hidden_group_size_x
      - .offset:         46
        .size:           2
        .value_kind:     hidden_group_size_y
      - .offset:         48
        .size:           2
        .value_kind:     hidden_group_size_z
      - .offset:         50
        .size:           2
        .value_kind:     hidden_remainder_x
      - .offset:         52
        .size:           2
        .value_kind:     hidden_remainder_y
      - .offset:         54
        .size:           2
        .value_kind:     hidden_remainder_z
      - .offset:         72
        .size:           8
        .value_kind:     hidden_global_offset_x
      - .offset:         80
        .size:           8
        .value_kind:     hidden_global_offset_y
      - .offset:         88
        .size:           8
        .value_kind:     hidden_global_offset_z
      - .offset:         96
        .size:           2
        .value_kind:     hidden_grid_dims
    .group_segment_fixed_size: 256
    .kernarg_segment_align: 8
    .kernarg_segment_size: 288
    .language:       OpenCL C
    .language_version:
      - 2
      - 0
    .max_flat_workgroup_size: 1024
    .name:           _Z14LLGemm1_kernelIN3c108BFloat16ELi2EEvPKT_S4_PS2_i
    .private_segment_fixed_size: 0
    .sgpr_count:     15
    .sgpr_spill_count: 0
    .symbol:         _Z14LLGemm1_kernelIN3c108BFloat16ELi2EEvPKT_S4_PS2_i.kd
    .uniform_work_group_size: 1
    .uses_dynamic_stack: false
    .vgpr_count:     18
    .vgpr_spill_count: 0
    .wavefront_size: 32
  - .args:
      - .address_space:  global
        .offset:         0
        .size:           8
        .value_kind:     global_buffer
      - .address_space:  global
        .offset:         8
        .size:           8
        .value_kind:     global_buffer
      - .address_space:  global
        .offset:         16
        .size:           8
        .value_kind:     global_buffer
      - .offset:         24
        .size:           4
        .value_kind:     by_value
      - .offset:         32
        .size:           4
        .value_kind:     hidden_block_count_x
      - .offset:         36
        .size:           4
        .value_kind:     hidden_block_count_y
      - .offset:         40
        .size:           4
        .value_kind:     hidden_block_count_z
      - .offset:         44
        .size:           2
        .value_kind:     hidden_group_size_x
      - .offset:         46
        .size:           2
        .value_kind:     hidden_group_size_y
      - .offset:         48
        .size:           2
        .value_kind:     hidden_group_size_z
      - .offset:         50
        .size:           2
        .value_kind:     hidden_remainder_x
      - .offset:         52
        .size:           2
        .value_kind:     hidden_remainder_y
      - .offset:         54
        .size:           2
        .value_kind:     hidden_remainder_z
      - .offset:         72
        .size:           8
        .value_kind:     hidden_global_offset_x
      - .offset:         80
        .size:           8
        .value_kind:     hidden_global_offset_y
      - .offset:         88
        .size:           8
        .value_kind:     hidden_global_offset_z
      - .offset:         96
        .size:           2
        .value_kind:     hidden_grid_dims
    .group_segment_fixed_size: 512
    .kernarg_segment_align: 8
    .kernarg_segment_size: 288
    .language:       OpenCL C
    .language_version:
      - 2
      - 0
    .max_flat_workgroup_size: 1024
    .name:           _Z14LLGemm1_kernelIN3c108BFloat16ELi4EEvPKT_S4_PS2_i
    .private_segment_fixed_size: 0
    .sgpr_count:     15
    .sgpr_spill_count: 0
    .symbol:         _Z14LLGemm1_kernelIN3c108BFloat16ELi4EEvPKT_S4_PS2_i.kd
    .uniform_work_group_size: 1
    .uses_dynamic_stack: false
    .vgpr_count:     28
    .vgpr_spill_count: 0
    .wavefront_size: 32
  - .args:
      - .address_space:  global
        .offset:         0
        .size:           8
        .value_kind:     global_buffer
      - .address_space:  global
        .offset:         8
        .size:           8
        .value_kind:     global_buffer
      - .address_space:  global
        .offset:         16
        .size:           8
        .value_kind:     global_buffer
      - .offset:         24
        .size:           4
        .value_kind:     by_value
      - .offset:         32
        .size:           4
        .value_kind:     hidden_block_count_x
      - .offset:         36
        .size:           4
        .value_kind:     hidden_block_count_y
      - .offset:         40
        .size:           4
        .value_kind:     hidden_block_count_z
      - .offset:         44
        .size:           2
        .value_kind:     hidden_group_size_x
      - .offset:         46
        .size:           2
        .value_kind:     hidden_group_size_y
      - .offset:         48
        .size:           2
        .value_kind:     hidden_group_size_z
      - .offset:         50
        .size:           2
        .value_kind:     hidden_remainder_x
      - .offset:         52
        .size:           2
        .value_kind:     hidden_remainder_y
      - .offset:         54
        .size:           2
        .value_kind:     hidden_remainder_z
      - .offset:         72
        .size:           8
        .value_kind:     hidden_global_offset_x
      - .offset:         80
        .size:           8
        .value_kind:     hidden_global_offset_y
      - .offset:         88
        .size:           8
        .value_kind:     hidden_global_offset_z
      - .offset:         96
        .size:           2
        .value_kind:     hidden_grid_dims
    .group_segment_fixed_size: 1024
    .kernarg_segment_align: 8
    .kernarg_segment_size: 288
    .language:       OpenCL C
    .language_version:
      - 2
      - 0
    .max_flat_workgroup_size: 1024
    .name:           _Z14LLGemm1_kernelIN3c108BFloat16ELi8EEvPKT_S4_PS2_i
    .private_segment_fixed_size: 0
    .sgpr_count:     15
    .sgpr_spill_count: 0
    .symbol:         _Z14LLGemm1_kernelIN3c108BFloat16ELi8EEvPKT_S4_PS2_i.kd
    .uniform_work_group_size: 1
    .uses_dynamic_stack: false
    .vgpr_count:     50
    .vgpr_spill_count: 0
    .wavefront_size: 32
  - .args:
      - .address_space:  global
        .offset:         0
        .size:           8
        .value_kind:     global_buffer
      - .address_space:  global
        .offset:         8
        .size:           8
        .value_kind:     global_buffer
      - .address_space:  global
        .offset:         16
        .size:           8
        .value_kind:     global_buffer
      - .offset:         24
        .size:           4
        .value_kind:     by_value
      - .offset:         32
        .size:           4
        .value_kind:     hidden_block_count_x
      - .offset:         36
        .size:           4
        .value_kind:     hidden_block_count_y
      - .offset:         40
        .size:           4
        .value_kind:     hidden_block_count_z
      - .offset:         44
        .size:           2
        .value_kind:     hidden_group_size_x
      - .offset:         46
        .size:           2
        .value_kind:     hidden_group_size_y
      - .offset:         48
        .size:           2
        .value_kind:     hidden_group_size_z
      - .offset:         50
        .size:           2
        .value_kind:     hidden_remainder_x
      - .offset:         52
        .size:           2
        .value_kind:     hidden_remainder_y
      - .offset:         54
        .size:           2
        .value_kind:     hidden_remainder_z
      - .offset:         72
        .size:           8
        .value_kind:     hidden_global_offset_x
      - .offset:         80
        .size:           8
        .value_kind:     hidden_global_offset_y
      - .offset:         88
        .size:           8
        .value_kind:     hidden_global_offset_z
      - .offset:         96
        .size:           2
        .value_kind:     hidden_grid_dims
    .group_segment_fixed_size: 2048
    .kernarg_segment_align: 8
    .kernarg_segment_size: 288
    .language:       OpenCL C
    .language_version:
      - 2
      - 0
    .max_flat_workgroup_size: 1024
    .name:           _Z14LLGemm1_kernelIN3c108BFloat16ELi16EEvPKT_S4_PS2_i
    .private_segment_fixed_size: 0
    .sgpr_count:     15
    .sgpr_spill_count: 0
    .symbol:         _Z14LLGemm1_kernelIN3c108BFloat16ELi16EEvPKT_S4_PS2_i.kd
    .uniform_work_group_size: 1
    .uses_dynamic_stack: false
    .vgpr_count:     81
    .vgpr_spill_count: 0
    .wavefront_size: 32
  - .args:
      - .offset:         0
        .size:           4
        .value_kind:     by_value
      - .offset:         4
        .size:           4
        .value_kind:     by_value
      - .address_space:  global
        .offset:         8
        .size:           8
        .value_kind:     global_buffer
      - .actual_access:  read_only
        .address_space:  global
        .offset:         16
        .size:           8
        .value_kind:     global_buffer
      - .address_space:  global
        .offset:         24
        .size:           8
        .value_kind:     global_buffer
      - .offset:         32
        .size:           4
        .value_kind:     by_value
      - .offset:         36
        .size:           4
        .value_kind:     by_value
      - .offset:         40
        .size:           4
        .value_kind:     hidden_block_count_x
      - .offset:         44
        .size:           4
        .value_kind:     hidden_block_count_y
      - .offset:         48
        .size:           4
        .value_kind:     hidden_block_count_z
      - .offset:         52
        .size:           2
        .value_kind:     hidden_group_size_x
      - .offset:         54
        .size:           2
        .value_kind:     hidden_group_size_y
      - .offset:         56
        .size:           2
        .value_kind:     hidden_group_size_z
      - .offset:         58
        .size:           2
        .value_kind:     hidden_remainder_x
      - .offset:         60
        .size:           2
        .value_kind:     hidden_remainder_y
      - .offset:         62
        .size:           2
        .value_kind:     hidden_remainder_z
      - .offset:         80
        .size:           8
        .value_kind:     hidden_global_offset_x
      - .offset:         88
        .size:           8
        .value_kind:     hidden_global_offset_y
      - .offset:         96
        .size:           8
        .value_kind:     hidden_global_offset_z
      - .offset:         104
        .size:           2
        .value_kind:     hidden_grid_dims
      - .offset:         120
        .size:           8
        .value_kind:     hidden_hostcall_buffer
    .group_segment_fixed_size: 0
    .kernarg_segment_align: 8
    .kernarg_segment_size: 296
    .language:       OpenCL C
    .language_version:
      - 2
      - 0
    .max_flat_workgroup_size: 1024
    .name:           _Z16wvSplitK_hf_sml_I6__halfLi64ELi2ELi16ELi8ELi2ELi1EEviiPKT_S3_PS1_ii
    .private_segment_fixed_size: 64
    .sgpr_count:     36
    .sgpr_spill_count: 0
    .symbol:         _Z16wvSplitK_hf_sml_I6__halfLi64ELi2ELi16ELi8ELi2ELi1EEviiPKT_S3_PS1_ii.kd
    .uniform_work_group_size: 1
    .uses_dynamic_stack: false
    .vgpr_count:     51
    .vgpr_spill_count: 0
    .wavefront_size: 32
  - .args:
      - .offset:         0
        .size:           4
        .value_kind:     by_value
      - .offset:         4
        .size:           4
        .value_kind:     by_value
      - .address_space:  global
        .offset:         8
        .size:           8
        .value_kind:     global_buffer
      - .actual_access:  read_only
        .address_space:  global
        .offset:         16
        .size:           8
        .value_kind:     global_buffer
      - .address_space:  global
        .offset:         24
        .size:           8
        .value_kind:     global_buffer
      - .offset:         32
        .size:           4
        .value_kind:     by_value
      - .offset:         36
        .size:           4
        .value_kind:     by_value
      - .offset:         40
        .size:           4
        .value_kind:     hidden_block_count_x
      - .offset:         44
        .size:           4
        .value_kind:     hidden_block_count_y
      - .offset:         48
        .size:           4
        .value_kind:     hidden_block_count_z
      - .offset:         52
        .size:           2
        .value_kind:     hidden_group_size_x
      - .offset:         54
        .size:           2
        .value_kind:     hidden_group_size_y
      - .offset:         56
        .size:           2
        .value_kind:     hidden_group_size_z
      - .offset:         58
        .size:           2
        .value_kind:     hidden_remainder_x
      - .offset:         60
        .size:           2
        .value_kind:     hidden_remainder_y
      - .offset:         62
        .size:           2
        .value_kind:     hidden_remainder_z
      - .offset:         80
        .size:           8
        .value_kind:     hidden_global_offset_x
      - .offset:         88
        .size:           8
        .value_kind:     hidden_global_offset_y
      - .offset:         96
        .size:           8
        .value_kind:     hidden_global_offset_z
      - .offset:         104
        .size:           2
        .value_kind:     hidden_grid_dims
      - .offset:         120
        .size:           8
        .value_kind:     hidden_hostcall_buffer
    .group_segment_fixed_size: 0
    .kernarg_segment_align: 8
    .kernarg_segment_size: 296
    .language:       OpenCL C
    .language_version:
      - 2
      - 0
    .max_flat_workgroup_size: 1024
    .name:           _Z12wvSplitK_hf_I6__halfLi64ELi2ELi16ELi8ELi2ELi1EEviiPKT_S3_PS1_ii
    .private_segment_fixed_size: 64
    .sgpr_count:     36
    .sgpr_spill_count: 0
    .symbol:         _Z12wvSplitK_hf_I6__halfLi64ELi2ELi16ELi8ELi2ELi1EEviiPKT_S3_PS1_ii.kd
    .uniform_work_group_size: 1
    .uses_dynamic_stack: false
    .vgpr_count:     51
    .vgpr_spill_count: 0
    .wavefront_size: 32
  - .args:
      - .offset:         0
        .size:           4
        .value_kind:     by_value
      - .offset:         4
        .size:           4
        .value_kind:     by_value
      - .address_space:  global
        .offset:         8
        .size:           8
        .value_kind:     global_buffer
      - .actual_access:  read_only
        .address_space:  global
        .offset:         16
        .size:           8
        .value_kind:     global_buffer
      - .address_space:  global
        .offset:         24
        .size:           8
        .value_kind:     global_buffer
      - .offset:         32
        .size:           4
        .value_kind:     by_value
      - .offset:         36
        .size:           4
        .value_kind:     by_value
      - .offset:         40
        .size:           4
        .value_kind:     hidden_block_count_x
      - .offset:         44
        .size:           4
        .value_kind:     hidden_block_count_y
      - .offset:         48
        .size:           4
        .value_kind:     hidden_block_count_z
      - .offset:         52
        .size:           2
        .value_kind:     hidden_group_size_x
      - .offset:         54
        .size:           2
        .value_kind:     hidden_group_size_y
      - .offset:         56
        .size:           2
        .value_kind:     hidden_group_size_z
      - .offset:         58
        .size:           2
        .value_kind:     hidden_remainder_x
      - .offset:         60
        .size:           2
        .value_kind:     hidden_remainder_y
      - .offset:         62
        .size:           2
        .value_kind:     hidden_remainder_z
      - .offset:         80
        .size:           8
        .value_kind:     hidden_global_offset_x
      - .offset:         88
        .size:           8
        .value_kind:     hidden_global_offset_y
      - .offset:         96
        .size:           8
        .value_kind:     hidden_global_offset_z
      - .offset:         104
        .size:           2
        .value_kind:     hidden_grid_dims
      - .offset:         120
        .size:           8
        .value_kind:     hidden_hostcall_buffer
    .group_segment_fixed_size: 0
    .kernarg_segment_align: 8
    .kernarg_segment_size: 296
    .language:       OpenCL C
    .language_version:
      - 2
      - 0
    .max_flat_workgroup_size: 1024
    .name:           _Z16wvSplitK_hf_big_I6__halfLi64ELi2ELi16ELi8ELi2ELi1EEviiPKT_S3_PS1_ii
    .private_segment_fixed_size: 64
    .sgpr_count:     36
    .sgpr_spill_count: 0
    .symbol:         _Z16wvSplitK_hf_big_I6__halfLi64ELi2ELi16ELi8ELi2ELi1EEviiPKT_S3_PS1_ii.kd
    .uniform_work_group_size: 1
    .uses_dynamic_stack: false
    .vgpr_count:     51
    .vgpr_spill_count: 0
    .wavefront_size: 32
  - .args:
      - .offset:         0
        .size:           4
        .value_kind:     by_value
      - .offset:         4
        .size:           4
        .value_kind:     by_value
      - .address_space:  global
        .offset:         8
        .size:           8
        .value_kind:     global_buffer
      - .actual_access:  read_only
        .address_space:  global
        .offset:         16
        .size:           8
        .value_kind:     global_buffer
      - .address_space:  global
        .offset:         24
        .size:           8
        .value_kind:     global_buffer
      - .offset:         32
        .size:           4
        .value_kind:     by_value
      - .offset:         36
        .size:           4
        .value_kind:     by_value
      - .offset:         40
        .size:           4
        .value_kind:     hidden_block_count_x
      - .offset:         44
        .size:           4
        .value_kind:     hidden_block_count_y
      - .offset:         48
        .size:           4
        .value_kind:     hidden_block_count_z
      - .offset:         52
        .size:           2
        .value_kind:     hidden_group_size_x
      - .offset:         54
        .size:           2
        .value_kind:     hidden_group_size_y
      - .offset:         56
        .size:           2
        .value_kind:     hidden_group_size_z
      - .offset:         58
        .size:           2
        .value_kind:     hidden_remainder_x
      - .offset:         60
        .size:           2
        .value_kind:     hidden_remainder_y
      - .offset:         62
        .size:           2
        .value_kind:     hidden_remainder_z
      - .offset:         80
        .size:           8
        .value_kind:     hidden_global_offset_x
      - .offset:         88
        .size:           8
        .value_kind:     hidden_global_offset_y
      - .offset:         96
        .size:           8
        .value_kind:     hidden_global_offset_z
      - .offset:         104
        .size:           2
        .value_kind:     hidden_grid_dims
      - .offset:         120
        .size:           8
        .value_kind:     hidden_hostcall_buffer
    .group_segment_fixed_size: 0
    .kernarg_segment_align: 8
    .kernarg_segment_size: 296
    .language:       OpenCL C
    .language_version:
      - 2
      - 0
    .max_flat_workgroup_size: 1024
    .name:           _Z16wvSplitK_hf_sml_I6__halfLi64ELi2ELi16ELi8ELi2ELi2EEviiPKT_S3_PS1_ii
    .private_segment_fixed_size: 64
    .sgpr_count:     36
    .sgpr_spill_count: 0
    .symbol:         _Z16wvSplitK_hf_sml_I6__halfLi64ELi2ELi16ELi8ELi2ELi2EEviiPKT_S3_PS1_ii.kd
    .uniform_work_group_size: 1
    .uses_dynamic_stack: false
    .vgpr_count:     51
    .vgpr_spill_count: 0
    .wavefront_size: 32
  - .args:
      - .offset:         0
        .size:           4
        .value_kind:     by_value
      - .offset:         4
        .size:           4
        .value_kind:     by_value
      - .address_space:  global
        .offset:         8
        .size:           8
        .value_kind:     global_buffer
      - .actual_access:  read_only
        .address_space:  global
        .offset:         16
        .size:           8
        .value_kind:     global_buffer
      - .address_space:  global
        .offset:         24
        .size:           8
        .value_kind:     global_buffer
      - .offset:         32
        .size:           4
        .value_kind:     by_value
      - .offset:         36
        .size:           4
        .value_kind:     by_value
      - .offset:         40
        .size:           4
        .value_kind:     hidden_block_count_x
      - .offset:         44
        .size:           4
        .value_kind:     hidden_block_count_y
      - .offset:         48
        .size:           4
        .value_kind:     hidden_block_count_z
      - .offset:         52
        .size:           2
        .value_kind:     hidden_group_size_x
      - .offset:         54
        .size:           2
        .value_kind:     hidden_group_size_y
      - .offset:         56
        .size:           2
        .value_kind:     hidden_group_size_z
      - .offset:         58
        .size:           2
        .value_kind:     hidden_remainder_x
      - .offset:         60
        .size:           2
        .value_kind:     hidden_remainder_y
      - .offset:         62
        .size:           2
        .value_kind:     hidden_remainder_z
      - .offset:         80
        .size:           8
        .value_kind:     hidden_global_offset_x
      - .offset:         88
        .size:           8
        .value_kind:     hidden_global_offset_y
      - .offset:         96
        .size:           8
        .value_kind:     hidden_global_offset_z
      - .offset:         104
        .size:           2
        .value_kind:     hidden_grid_dims
      - .offset:         120
        .size:           8
        .value_kind:     hidden_hostcall_buffer
    .group_segment_fixed_size: 0
    .kernarg_segment_align: 8
    .kernarg_segment_size: 296
    .language:       OpenCL C
    .language_version:
      - 2
      - 0
    .max_flat_workgroup_size: 1024
    .name:           _Z12wvSplitK_hf_I6__halfLi64ELi2ELi16ELi8ELi2ELi2EEviiPKT_S3_PS1_ii
    .private_segment_fixed_size: 64
    .sgpr_count:     36
    .sgpr_spill_count: 0
    .symbol:         _Z12wvSplitK_hf_I6__halfLi64ELi2ELi16ELi8ELi2ELi2EEviiPKT_S3_PS1_ii.kd
    .uniform_work_group_size: 1
    .uses_dynamic_stack: false
    .vgpr_count:     51
    .vgpr_spill_count: 0
    .wavefront_size: 32
  - .args:
      - .offset:         0
        .size:           4
        .value_kind:     by_value
      - .offset:         4
        .size:           4
        .value_kind:     by_value
      - .address_space:  global
        .offset:         8
        .size:           8
        .value_kind:     global_buffer
      - .actual_access:  read_only
        .address_space:  global
        .offset:         16
        .size:           8
        .value_kind:     global_buffer
      - .address_space:  global
        .offset:         24
        .size:           8
        .value_kind:     global_buffer
      - .offset:         32
        .size:           4
        .value_kind:     by_value
      - .offset:         36
        .size:           4
        .value_kind:     by_value
      - .offset:         40
        .size:           4
        .value_kind:     hidden_block_count_x
      - .offset:         44
        .size:           4
        .value_kind:     hidden_block_count_y
      - .offset:         48
        .size:           4
        .value_kind:     hidden_block_count_z
      - .offset:         52
        .size:           2
        .value_kind:     hidden_group_size_x
      - .offset:         54
        .size:           2
        .value_kind:     hidden_group_size_y
      - .offset:         56
        .size:           2
        .value_kind:     hidden_group_size_z
      - .offset:         58
        .size:           2
        .value_kind:     hidden_remainder_x
      - .offset:         60
        .size:           2
        .value_kind:     hidden_remainder_y
      - .offset:         62
        .size:           2
        .value_kind:     hidden_remainder_z
      - .offset:         80
        .size:           8
        .value_kind:     hidden_global_offset_x
      - .offset:         88
        .size:           8
        .value_kind:     hidden_global_offset_y
      - .offset:         96
        .size:           8
        .value_kind:     hidden_global_offset_z
      - .offset:         104
        .size:           2
        .value_kind:     hidden_grid_dims
      - .offset:         120
        .size:           8
        .value_kind:     hidden_hostcall_buffer
    .group_segment_fixed_size: 0
    .kernarg_segment_align: 8
    .kernarg_segment_size: 296
    .language:       OpenCL C
    .language_version:
      - 2
      - 0
    .max_flat_workgroup_size: 1024
    .name:           _Z16wvSplitK_hf_big_I6__halfLi64ELi2ELi16ELi8ELi2ELi2EEviiPKT_S3_PS1_ii
    .private_segment_fixed_size: 64
    .sgpr_count:     36
    .sgpr_spill_count: 0
    .symbol:         _Z16wvSplitK_hf_big_I6__halfLi64ELi2ELi16ELi8ELi2ELi2EEviiPKT_S3_PS1_ii.kd
    .uniform_work_group_size: 1
    .uses_dynamic_stack: false
    .vgpr_count:     51
    .vgpr_spill_count: 0
    .wavefront_size: 32
  - .args:
      - .offset:         0
        .size:           4
        .value_kind:     by_value
      - .offset:         4
        .size:           4
        .value_kind:     by_value
      - .address_space:  global
        .offset:         8
        .size:           8
        .value_kind:     global_buffer
      - .actual_access:  read_only
        .address_space:  global
        .offset:         16
        .size:           8
        .value_kind:     global_buffer
      - .address_space:  global
        .offset:         24
        .size:           8
        .value_kind:     global_buffer
      - .offset:         32
        .size:           4
        .value_kind:     by_value
      - .offset:         36
        .size:           4
        .value_kind:     by_value
      - .offset:         40
        .size:           4
        .value_kind:     hidden_block_count_x
      - .offset:         44
        .size:           4
        .value_kind:     hidden_block_count_y
      - .offset:         48
        .size:           4
        .value_kind:     hidden_block_count_z
      - .offset:         52
        .size:           2
        .value_kind:     hidden_group_size_x
      - .offset:         54
        .size:           2
        .value_kind:     hidden_group_size_y
      - .offset:         56
        .size:           2
        .value_kind:     hidden_group_size_z
      - .offset:         58
        .size:           2
        .value_kind:     hidden_remainder_x
      - .offset:         60
        .size:           2
        .value_kind:     hidden_remainder_y
      - .offset:         62
        .size:           2
        .value_kind:     hidden_remainder_z
      - .offset:         80
        .size:           8
        .value_kind:     hidden_global_offset_x
      - .offset:         88
        .size:           8
        .value_kind:     hidden_global_offset_y
      - .offset:         96
        .size:           8
        .value_kind:     hidden_global_offset_z
      - .offset:         104
        .size:           2
        .value_kind:     hidden_grid_dims
      - .offset:         120
        .size:           8
        .value_kind:     hidden_hostcall_buffer
    .group_segment_fixed_size: 0
    .kernarg_segment_align: 8
    .kernarg_segment_size: 296
    .language:       OpenCL C
    .language_version:
      - 2
      - 0
    .max_flat_workgroup_size: 1024
    .name:           _Z16wvSplitK_hf_sml_I6__halfLi64ELi4ELi16ELi8ELi1ELi3EEviiPKT_S3_PS1_ii
    .private_segment_fixed_size: 64
    .sgpr_count:     36
    .sgpr_spill_count: 0
    .symbol:         _Z16wvSplitK_hf_sml_I6__halfLi64ELi4ELi16ELi8ELi1ELi3EEviiPKT_S3_PS1_ii.kd
    .uniform_work_group_size: 1
    .uses_dynamic_stack: false
    .vgpr_count:     51
    .vgpr_spill_count: 0
    .wavefront_size: 32
  - .args:
      - .offset:         0
        .size:           4
        .value_kind:     by_value
      - .offset:         4
        .size:           4
        .value_kind:     by_value
      - .address_space:  global
        .offset:         8
        .size:           8
        .value_kind:     global_buffer
      - .actual_access:  read_only
        .address_space:  global
        .offset:         16
        .size:           8
        .value_kind:     global_buffer
      - .address_space:  global
        .offset:         24
        .size:           8
        .value_kind:     global_buffer
      - .offset:         32
        .size:           4
        .value_kind:     by_value
      - .offset:         36
        .size:           4
        .value_kind:     by_value
      - .offset:         40
        .size:           4
        .value_kind:     hidden_block_count_x
      - .offset:         44
        .size:           4
        .value_kind:     hidden_block_count_y
      - .offset:         48
        .size:           4
        .value_kind:     hidden_block_count_z
      - .offset:         52
        .size:           2
        .value_kind:     hidden_group_size_x
      - .offset:         54
        .size:           2
        .value_kind:     hidden_group_size_y
      - .offset:         56
        .size:           2
        .value_kind:     hidden_group_size_z
      - .offset:         58
        .size:           2
        .value_kind:     hidden_remainder_x
      - .offset:         60
        .size:           2
        .value_kind:     hidden_remainder_y
      - .offset:         62
        .size:           2
        .value_kind:     hidden_remainder_z
      - .offset:         80
        .size:           8
        .value_kind:     hidden_global_offset_x
      - .offset:         88
        .size:           8
        .value_kind:     hidden_global_offset_y
      - .offset:         96
        .size:           8
        .value_kind:     hidden_global_offset_z
      - .offset:         104
        .size:           2
        .value_kind:     hidden_grid_dims
      - .offset:         120
        .size:           8
        .value_kind:     hidden_hostcall_buffer
    .group_segment_fixed_size: 0
    .kernarg_segment_align: 8
    .kernarg_segment_size: 296
    .language:       OpenCL C
    .language_version:
      - 2
      - 0
    .max_flat_workgroup_size: 1024
    .name:           _Z12wvSplitK_hf_I6__halfLi64ELi7ELi16ELi8ELi1ELi3EEviiPKT_S3_PS1_ii
    .private_segment_fixed_size: 64
    .sgpr_count:     36
    .sgpr_spill_count: 0
    .symbol:         _Z12wvSplitK_hf_I6__halfLi64ELi7ELi16ELi8ELi1ELi3EEviiPKT_S3_PS1_ii.kd
    .uniform_work_group_size: 1
    .uses_dynamic_stack: false
    .vgpr_count:     51
    .vgpr_spill_count: 0
    .wavefront_size: 32
  - .args:
      - .offset:         0
        .size:           4
        .value_kind:     by_value
      - .offset:         4
        .size:           4
        .value_kind:     by_value
      - .address_space:  global
        .offset:         8
        .size:           8
        .value_kind:     global_buffer
      - .actual_access:  read_only
        .address_space:  global
        .offset:         16
        .size:           8
        .value_kind:     global_buffer
      - .address_space:  global
        .offset:         24
        .size:           8
        .value_kind:     global_buffer
      - .offset:         32
        .size:           4
        .value_kind:     by_value
      - .offset:         36
        .size:           4
        .value_kind:     by_value
      - .offset:         40
        .size:           4
        .value_kind:     hidden_block_count_x
      - .offset:         44
        .size:           4
        .value_kind:     hidden_block_count_y
      - .offset:         48
        .size:           4
        .value_kind:     hidden_block_count_z
      - .offset:         52
        .size:           2
        .value_kind:     hidden_group_size_x
      - .offset:         54
        .size:           2
        .value_kind:     hidden_group_size_y
      - .offset:         56
        .size:           2
        .value_kind:     hidden_group_size_z
      - .offset:         58
        .size:           2
        .value_kind:     hidden_remainder_x
      - .offset:         60
        .size:           2
        .value_kind:     hidden_remainder_y
      - .offset:         62
        .size:           2
        .value_kind:     hidden_remainder_z
      - .offset:         80
        .size:           8
        .value_kind:     hidden_global_offset_x
      - .offset:         88
        .size:           8
        .value_kind:     hidden_global_offset_y
      - .offset:         96
        .size:           8
        .value_kind:     hidden_global_offset_z
      - .offset:         104
        .size:           2
        .value_kind:     hidden_grid_dims
      - .offset:         120
        .size:           8
        .value_kind:     hidden_hostcall_buffer
    .group_segment_fixed_size: 0
    .kernarg_segment_align: 8
    .kernarg_segment_size: 296
    .language:       OpenCL C
    .language_version:
      - 2
      - 0
    .max_flat_workgroup_size: 1024
    .name:           _Z16wvSplitK_hf_big_I6__halfLi64ELi7ELi16ELi8ELi1ELi3EEviiPKT_S3_PS1_ii
    .private_segment_fixed_size: 64
    .sgpr_count:     36
    .sgpr_spill_count: 0
    .symbol:         _Z16wvSplitK_hf_big_I6__halfLi64ELi7ELi16ELi8ELi1ELi3EEviiPKT_S3_PS1_ii.kd
    .uniform_work_group_size: 1
    .uses_dynamic_stack: false
    .vgpr_count:     51
    .vgpr_spill_count: 0
    .wavefront_size: 32
  - .args:
      - .offset:         0
        .size:           4
        .value_kind:     by_value
      - .offset:         4
        .size:           4
        .value_kind:     by_value
      - .address_space:  global
        .offset:         8
        .size:           8
        .value_kind:     global_buffer
      - .actual_access:  read_only
        .address_space:  global
        .offset:         16
        .size:           8
        .value_kind:     global_buffer
      - .address_space:  global
        .offset:         24
        .size:           8
        .value_kind:     global_buffer
      - .offset:         32
        .size:           4
        .value_kind:     by_value
      - .offset:         36
        .size:           4
        .value_kind:     by_value
      - .offset:         40
        .size:           4
        .value_kind:     hidden_block_count_x
      - .offset:         44
        .size:           4
        .value_kind:     hidden_block_count_y
      - .offset:         48
        .size:           4
        .value_kind:     hidden_block_count_z
      - .offset:         52
        .size:           2
        .value_kind:     hidden_group_size_x
      - .offset:         54
        .size:           2
        .value_kind:     hidden_group_size_y
      - .offset:         56
        .size:           2
        .value_kind:     hidden_group_size_z
      - .offset:         58
        .size:           2
        .value_kind:     hidden_remainder_x
      - .offset:         60
        .size:           2
        .value_kind:     hidden_remainder_y
      - .offset:         62
        .size:           2
        .value_kind:     hidden_remainder_z
      - .offset:         80
        .size:           8
        .value_kind:     hidden_global_offset_x
      - .offset:         88
        .size:           8
        .value_kind:     hidden_global_offset_y
      - .offset:         96
        .size:           8
        .value_kind:     hidden_global_offset_z
      - .offset:         104
        .size:           2
        .value_kind:     hidden_grid_dims
      - .offset:         120
        .size:           8
        .value_kind:     hidden_hostcall_buffer
    .group_segment_fixed_size: 0
    .kernarg_segment_align: 8
    .kernarg_segment_size: 296
    .language:       OpenCL C
    .language_version:
      - 2
      - 0
    .max_flat_workgroup_size: 1024
    .name:           _Z16wvSplitK_hf_sml_I6__halfLi64ELi4ELi16ELi8ELi1ELi4EEviiPKT_S3_PS1_ii
    .private_segment_fixed_size: 64
    .sgpr_count:     36
    .sgpr_spill_count: 0
    .symbol:         _Z16wvSplitK_hf_sml_I6__halfLi64ELi4ELi16ELi8ELi1ELi4EEviiPKT_S3_PS1_ii.kd
    .uniform_work_group_size: 1
    .uses_dynamic_stack: false
    .vgpr_count:     51
    .vgpr_spill_count: 0
    .wavefront_size: 32
  - .args:
      - .offset:         0
        .size:           4
        .value_kind:     by_value
      - .offset:         4
        .size:           4
        .value_kind:     by_value
      - .address_space:  global
        .offset:         8
        .size:           8
        .value_kind:     global_buffer
      - .actual_access:  read_only
        .address_space:  global
        .offset:         16
        .size:           8
        .value_kind:     global_buffer
      - .address_space:  global
        .offset:         24
        .size:           8
        .value_kind:     global_buffer
      - .offset:         32
        .size:           4
        .value_kind:     by_value
      - .offset:         36
        .size:           4
        .value_kind:     by_value
      - .offset:         40
        .size:           4
        .value_kind:     hidden_block_count_x
      - .offset:         44
        .size:           4
        .value_kind:     hidden_block_count_y
      - .offset:         48
        .size:           4
        .value_kind:     hidden_block_count_z
      - .offset:         52
        .size:           2
        .value_kind:     hidden_group_size_x
      - .offset:         54
        .size:           2
        .value_kind:     hidden_group_size_y
      - .offset:         56
        .size:           2
        .value_kind:     hidden_group_size_z
      - .offset:         58
        .size:           2
        .value_kind:     hidden_remainder_x
      - .offset:         60
        .size:           2
        .value_kind:     hidden_remainder_y
      - .offset:         62
        .size:           2
        .value_kind:     hidden_remainder_z
      - .offset:         80
        .size:           8
        .value_kind:     hidden_global_offset_x
      - .offset:         88
        .size:           8
        .value_kind:     hidden_global_offset_y
      - .offset:         96
        .size:           8
        .value_kind:     hidden_global_offset_z
      - .offset:         104
        .size:           2
        .value_kind:     hidden_grid_dims
      - .offset:         120
        .size:           8
        .value_kind:     hidden_hostcall_buffer
    .group_segment_fixed_size: 0
    .kernarg_segment_align: 8
    .kernarg_segment_size: 296
    .language:       OpenCL C
    .language_version:
      - 2
      - 0
    .max_flat_workgroup_size: 1024
    .name:           _Z12wvSplitK_hf_I6__halfLi64ELi7ELi16ELi8ELi1ELi4EEviiPKT_S3_PS1_ii
    .private_segment_fixed_size: 64
    .sgpr_count:     36
    .sgpr_spill_count: 0
    .symbol:         _Z12wvSplitK_hf_I6__halfLi64ELi7ELi16ELi8ELi1ELi4EEviiPKT_S3_PS1_ii.kd
    .uniform_work_group_size: 1
    .uses_dynamic_stack: false
    .vgpr_count:     51
    .vgpr_spill_count: 0
    .wavefront_size: 32
  - .args:
      - .offset:         0
        .size:           4
        .value_kind:     by_value
      - .offset:         4
        .size:           4
        .value_kind:     by_value
      - .address_space:  global
        .offset:         8
        .size:           8
        .value_kind:     global_buffer
      - .actual_access:  read_only
        .address_space:  global
        .offset:         16
        .size:           8
        .value_kind:     global_buffer
      - .address_space:  global
        .offset:         24
        .size:           8
        .value_kind:     global_buffer
      - .offset:         32
        .size:           4
        .value_kind:     by_value
      - .offset:         36
        .size:           4
        .value_kind:     by_value
      - .offset:         40
        .size:           4
        .value_kind:     hidden_block_count_x
      - .offset:         44
        .size:           4
        .value_kind:     hidden_block_count_y
      - .offset:         48
        .size:           4
        .value_kind:     hidden_block_count_z
      - .offset:         52
        .size:           2
        .value_kind:     hidden_group_size_x
      - .offset:         54
        .size:           2
        .value_kind:     hidden_group_size_y
      - .offset:         56
        .size:           2
        .value_kind:     hidden_group_size_z
      - .offset:         58
        .size:           2
        .value_kind:     hidden_remainder_x
      - .offset:         60
        .size:           2
        .value_kind:     hidden_remainder_y
      - .offset:         62
        .size:           2
        .value_kind:     hidden_remainder_z
      - .offset:         80
        .size:           8
        .value_kind:     hidden_global_offset_x
      - .offset:         88
        .size:           8
        .value_kind:     hidden_global_offset_y
      - .offset:         96
        .size:           8
        .value_kind:     hidden_global_offset_z
      - .offset:         104
        .size:           2
        .value_kind:     hidden_grid_dims
      - .offset:         120
        .size:           8
        .value_kind:     hidden_hostcall_buffer
    .group_segment_fixed_size: 0
    .kernarg_segment_align: 8
    .kernarg_segment_size: 296
    .language:       OpenCL C
    .language_version:
      - 2
      - 0
    .max_flat_workgroup_size: 1024
    .name:           _Z16wvSplitK_hf_big_I6__halfLi64ELi7ELi16ELi8ELi1ELi4EEviiPKT_S3_PS1_ii
    .private_segment_fixed_size: 64
    .sgpr_count:     36
    .sgpr_spill_count: 0
    .symbol:         _Z16wvSplitK_hf_big_I6__halfLi64ELi7ELi16ELi8ELi1ELi4EEviiPKT_S3_PS1_ii.kd
    .uniform_work_group_size: 1
    .uses_dynamic_stack: false
    .vgpr_count:     51
    .vgpr_spill_count: 0
    .wavefront_size: 32
  - .args:
      - .offset:         0
        .size:           4
        .value_kind:     by_value
      - .offset:         4
        .size:           4
        .value_kind:     by_value
      - .address_space:  global
        .offset:         8
        .size:           8
        .value_kind:     global_buffer
      - .actual_access:  read_only
        .address_space:  global
        .offset:         16
        .size:           8
        .value_kind:     global_buffer
      - .address_space:  global
        .offset:         24
        .size:           8
        .value_kind:     global_buffer
      - .offset:         32
        .size:           4
        .value_kind:     by_value
      - .offset:         36
        .size:           4
        .value_kind:     by_value
      - .offset:         40
        .size:           4
        .value_kind:     hidden_block_count_x
      - .offset:         44
        .size:           4
        .value_kind:     hidden_block_count_y
      - .offset:         48
        .size:           4
        .value_kind:     hidden_block_count_z
      - .offset:         52
        .size:           2
        .value_kind:     hidden_group_size_x
      - .offset:         54
        .size:           2
        .value_kind:     hidden_group_size_y
      - .offset:         56
        .size:           2
        .value_kind:     hidden_group_size_z
      - .offset:         58
        .size:           2
        .value_kind:     hidden_remainder_x
      - .offset:         60
        .size:           2
        .value_kind:     hidden_remainder_y
      - .offset:         62
        .size:           2
        .value_kind:     hidden_remainder_z
      - .offset:         80
        .size:           8
        .value_kind:     hidden_global_offset_x
      - .offset:         88
        .size:           8
        .value_kind:     hidden_global_offset_y
      - .offset:         96
        .size:           8
        .value_kind:     hidden_global_offset_z
      - .offset:         104
        .size:           2
        .value_kind:     hidden_grid_dims
      - .offset:         120
        .size:           8
        .value_kind:     hidden_hostcall_buffer
    .group_segment_fixed_size: 0
    .kernarg_segment_align: 8
    .kernarg_segment_size: 296
    .language:       OpenCL C
    .language_version:
      - 2
      - 0
    .max_flat_workgroup_size: 1024
    .name:           _Z16wvSplitK_hf_sml_I14__hip_bfloat16Li64ELi2ELi16ELi8ELi2ELi1EEviiPKT_S3_PS1_ii
    .private_segment_fixed_size: 64
    .sgpr_count:     36
    .sgpr_spill_count: 0
    .symbol:         _Z16wvSplitK_hf_sml_I14__hip_bfloat16Li64ELi2ELi16ELi8ELi2ELi1EEviiPKT_S3_PS1_ii.kd
    .uniform_work_group_size: 1
    .uses_dynamic_stack: false
    .vgpr_count:     51
    .vgpr_spill_count: 0
    .wavefront_size: 32
  - .args:
      - .offset:         0
        .size:           4
        .value_kind:     by_value
      - .offset:         4
        .size:           4
        .value_kind:     by_value
      - .address_space:  global
        .offset:         8
        .size:           8
        .value_kind:     global_buffer
      - .actual_access:  read_only
        .address_space:  global
        .offset:         16
        .size:           8
        .value_kind:     global_buffer
      - .address_space:  global
        .offset:         24
        .size:           8
        .value_kind:     global_buffer
      - .offset:         32
        .size:           4
        .value_kind:     by_value
      - .offset:         36
        .size:           4
        .value_kind:     by_value
      - .offset:         40
        .size:           4
        .value_kind:     hidden_block_count_x
      - .offset:         44
        .size:           4
        .value_kind:     hidden_block_count_y
      - .offset:         48
        .size:           4
        .value_kind:     hidden_block_count_z
      - .offset:         52
        .size:           2
        .value_kind:     hidden_group_size_x
      - .offset:         54
        .size:           2
        .value_kind:     hidden_group_size_y
      - .offset:         56
        .size:           2
        .value_kind:     hidden_group_size_z
      - .offset:         58
        .size:           2
        .value_kind:     hidden_remainder_x
      - .offset:         60
        .size:           2
        .value_kind:     hidden_remainder_y
      - .offset:         62
        .size:           2
        .value_kind:     hidden_remainder_z
      - .offset:         80
        .size:           8
        .value_kind:     hidden_global_offset_x
      - .offset:         88
        .size:           8
        .value_kind:     hidden_global_offset_y
      - .offset:         96
        .size:           8
        .value_kind:     hidden_global_offset_z
      - .offset:         104
        .size:           2
        .value_kind:     hidden_grid_dims
      - .offset:         120
        .size:           8
        .value_kind:     hidden_hostcall_buffer
    .group_segment_fixed_size: 0
    .kernarg_segment_align: 8
    .kernarg_segment_size: 296
    .language:       OpenCL C
    .language_version:
      - 2
      - 0
    .max_flat_workgroup_size: 1024
    .name:           _Z12wvSplitK_hf_I14__hip_bfloat16Li64ELi2ELi16ELi8ELi2ELi1EEviiPKT_S3_PS1_ii
    .private_segment_fixed_size: 64
    .sgpr_count:     36
    .sgpr_spill_count: 0
    .symbol:         _Z12wvSplitK_hf_I14__hip_bfloat16Li64ELi2ELi16ELi8ELi2ELi1EEviiPKT_S3_PS1_ii.kd
    .uniform_work_group_size: 1
    .uses_dynamic_stack: false
    .vgpr_count:     51
    .vgpr_spill_count: 0
    .wavefront_size: 32
  - .args:
      - .offset:         0
        .size:           4
        .value_kind:     by_value
      - .offset:         4
        .size:           4
        .value_kind:     by_value
      - .address_space:  global
        .offset:         8
        .size:           8
        .value_kind:     global_buffer
      - .actual_access:  read_only
        .address_space:  global
        .offset:         16
        .size:           8
        .value_kind:     global_buffer
      - .address_space:  global
        .offset:         24
        .size:           8
        .value_kind:     global_buffer
      - .offset:         32
        .size:           4
        .value_kind:     by_value
      - .offset:         36
        .size:           4
        .value_kind:     by_value
      - .offset:         40
        .size:           4
        .value_kind:     hidden_block_count_x
      - .offset:         44
        .size:           4
        .value_kind:     hidden_block_count_y
      - .offset:         48
        .size:           4
        .value_kind:     hidden_block_count_z
      - .offset:         52
        .size:           2
        .value_kind:     hidden_group_size_x
      - .offset:         54
        .size:           2
        .value_kind:     hidden_group_size_y
      - .offset:         56
        .size:           2
        .value_kind:     hidden_group_size_z
      - .offset:         58
        .size:           2
        .value_kind:     hidden_remainder_x
      - .offset:         60
        .size:           2
        .value_kind:     hidden_remainder_y
      - .offset:         62
        .size:           2
        .value_kind:     hidden_remainder_z
      - .offset:         80
        .size:           8
        .value_kind:     hidden_global_offset_x
      - .offset:         88
        .size:           8
        .value_kind:     hidden_global_offset_y
      - .offset:         96
        .size:           8
        .value_kind:     hidden_global_offset_z
      - .offset:         104
        .size:           2
        .value_kind:     hidden_grid_dims
      - .offset:         120
        .size:           8
        .value_kind:     hidden_hostcall_buffer
    .group_segment_fixed_size: 0
    .kernarg_segment_align: 8
    .kernarg_segment_size: 296
    .language:       OpenCL C
    .language_version:
      - 2
      - 0
    .max_flat_workgroup_size: 1024
    .name:           _Z16wvSplitK_hf_big_I14__hip_bfloat16Li64ELi2ELi16ELi8ELi2ELi1EEviiPKT_S3_PS1_ii
    .private_segment_fixed_size: 64
    .sgpr_count:     36
    .sgpr_spill_count: 0
    .symbol:         _Z16wvSplitK_hf_big_I14__hip_bfloat16Li64ELi2ELi16ELi8ELi2ELi1EEviiPKT_S3_PS1_ii.kd
    .uniform_work_group_size: 1
    .uses_dynamic_stack: false
    .vgpr_count:     51
    .vgpr_spill_count: 0
    .wavefront_size: 32
  - .args:
      - .offset:         0
        .size:           4
        .value_kind:     by_value
      - .offset:         4
        .size:           4
        .value_kind:     by_value
      - .address_space:  global
        .offset:         8
        .size:           8
        .value_kind:     global_buffer
      - .actual_access:  read_only
        .address_space:  global
        .offset:         16
        .size:           8
        .value_kind:     global_buffer
      - .address_space:  global
        .offset:         24
        .size:           8
        .value_kind:     global_buffer
      - .offset:         32
        .size:           4
        .value_kind:     by_value
      - .offset:         36
        .size:           4
        .value_kind:     by_value
      - .offset:         40
        .size:           4
        .value_kind:     hidden_block_count_x
      - .offset:         44
        .size:           4
        .value_kind:     hidden_block_count_y
      - .offset:         48
        .size:           4
        .value_kind:     hidden_block_count_z
      - .offset:         52
        .size:           2
        .value_kind:     hidden_group_size_x
      - .offset:         54
        .size:           2
        .value_kind:     hidden_group_size_y
      - .offset:         56
        .size:           2
        .value_kind:     hidden_group_size_z
      - .offset:         58
        .size:           2
        .value_kind:     hidden_remainder_x
      - .offset:         60
        .size:           2
        .value_kind:     hidden_remainder_y
      - .offset:         62
        .size:           2
        .value_kind:     hidden_remainder_z
      - .offset:         80
        .size:           8
        .value_kind:     hidden_global_offset_x
      - .offset:         88
        .size:           8
        .value_kind:     hidden_global_offset_y
      - .offset:         96
        .size:           8
        .value_kind:     hidden_global_offset_z
      - .offset:         104
        .size:           2
        .value_kind:     hidden_grid_dims
      - .offset:         120
        .size:           8
        .value_kind:     hidden_hostcall_buffer
    .group_segment_fixed_size: 0
    .kernarg_segment_align: 8
    .kernarg_segment_size: 296
    .language:       OpenCL C
    .language_version:
      - 2
      - 0
    .max_flat_workgroup_size: 1024
    .name:           _Z16wvSplitK_hf_sml_I14__hip_bfloat16Li64ELi2ELi16ELi8ELi2ELi2EEviiPKT_S3_PS1_ii
    .private_segment_fixed_size: 64
    .sgpr_count:     36
    .sgpr_spill_count: 0
    .symbol:         _Z16wvSplitK_hf_sml_I14__hip_bfloat16Li64ELi2ELi16ELi8ELi2ELi2EEviiPKT_S3_PS1_ii.kd
    .uniform_work_group_size: 1
    .uses_dynamic_stack: false
    .vgpr_count:     51
    .vgpr_spill_count: 0
    .wavefront_size: 32
  - .args:
      - .offset:         0
        .size:           4
        .value_kind:     by_value
      - .offset:         4
        .size:           4
        .value_kind:     by_value
      - .address_space:  global
        .offset:         8
        .size:           8
        .value_kind:     global_buffer
      - .actual_access:  read_only
        .address_space:  global
        .offset:         16
        .size:           8
        .value_kind:     global_buffer
      - .address_space:  global
        .offset:         24
        .size:           8
        .value_kind:     global_buffer
      - .offset:         32
        .size:           4
        .value_kind:     by_value
      - .offset:         36
        .size:           4
        .value_kind:     by_value
      - .offset:         40
        .size:           4
        .value_kind:     hidden_block_count_x
      - .offset:         44
        .size:           4
        .value_kind:     hidden_block_count_y
      - .offset:         48
        .size:           4
        .value_kind:     hidden_block_count_z
      - .offset:         52
        .size:           2
        .value_kind:     hidden_group_size_x
      - .offset:         54
        .size:           2
        .value_kind:     hidden_group_size_y
      - .offset:         56
        .size:           2
        .value_kind:     hidden_group_size_z
      - .offset:         58
        .size:           2
        .value_kind:     hidden_remainder_x
      - .offset:         60
        .size:           2
        .value_kind:     hidden_remainder_y
      - .offset:         62
        .size:           2
        .value_kind:     hidden_remainder_z
      - .offset:         80
        .size:           8
        .value_kind:     hidden_global_offset_x
      - .offset:         88
        .size:           8
        .value_kind:     hidden_global_offset_y
      - .offset:         96
        .size:           8
        .value_kind:     hidden_global_offset_z
      - .offset:         104
        .size:           2
        .value_kind:     hidden_grid_dims
      - .offset:         120
        .size:           8
        .value_kind:     hidden_hostcall_buffer
    .group_segment_fixed_size: 0
    .kernarg_segment_align: 8
    .kernarg_segment_size: 296
    .language:       OpenCL C
    .language_version:
      - 2
      - 0
    .max_flat_workgroup_size: 1024
    .name:           _Z12wvSplitK_hf_I14__hip_bfloat16Li64ELi2ELi16ELi8ELi2ELi2EEviiPKT_S3_PS1_ii
    .private_segment_fixed_size: 64
    .sgpr_count:     36
    .sgpr_spill_count: 0
    .symbol:         _Z12wvSplitK_hf_I14__hip_bfloat16Li64ELi2ELi16ELi8ELi2ELi2EEviiPKT_S3_PS1_ii.kd
    .uniform_work_group_size: 1
    .uses_dynamic_stack: false
    .vgpr_count:     51
    .vgpr_spill_count: 0
    .wavefront_size: 32
  - .args:
      - .offset:         0
        .size:           4
        .value_kind:     by_value
      - .offset:         4
        .size:           4
        .value_kind:     by_value
      - .address_space:  global
        .offset:         8
        .size:           8
        .value_kind:     global_buffer
      - .actual_access:  read_only
        .address_space:  global
        .offset:         16
        .size:           8
        .value_kind:     global_buffer
      - .address_space:  global
        .offset:         24
        .size:           8
        .value_kind:     global_buffer
      - .offset:         32
        .size:           4
        .value_kind:     by_value
      - .offset:         36
        .size:           4
        .value_kind:     by_value
      - .offset:         40
        .size:           4
        .value_kind:     hidden_block_count_x
      - .offset:         44
        .size:           4
        .value_kind:     hidden_block_count_y
      - .offset:         48
        .size:           4
        .value_kind:     hidden_block_count_z
      - .offset:         52
        .size:           2
        .value_kind:     hidden_group_size_x
      - .offset:         54
        .size:           2
        .value_kind:     hidden_group_size_y
      - .offset:         56
        .size:           2
        .value_kind:     hidden_group_size_z
      - .offset:         58
        .size:           2
        .value_kind:     hidden_remainder_x
      - .offset:         60
        .size:           2
        .value_kind:     hidden_remainder_y
      - .offset:         62
        .size:           2
        .value_kind:     hidden_remainder_z
      - .offset:         80
        .size:           8
        .value_kind:     hidden_global_offset_x
      - .offset:         88
        .size:           8
        .value_kind:     hidden_global_offset_y
      - .offset:         96
        .size:           8
        .value_kind:     hidden_global_offset_z
      - .offset:         104
        .size:           2
        .value_kind:     hidden_grid_dims
      - .offset:         120
        .size:           8
        .value_kind:     hidden_hostcall_buffer
    .group_segment_fixed_size: 0
    .kernarg_segment_align: 8
    .kernarg_segment_size: 296
    .language:       OpenCL C
    .language_version:
      - 2
      - 0
    .max_flat_workgroup_size: 1024
    .name:           _Z16wvSplitK_hf_big_I14__hip_bfloat16Li64ELi2ELi16ELi8ELi2ELi2EEviiPKT_S3_PS1_ii
    .private_segment_fixed_size: 64
    .sgpr_count:     36
    .sgpr_spill_count: 0
    .symbol:         _Z16wvSplitK_hf_big_I14__hip_bfloat16Li64ELi2ELi16ELi8ELi2ELi2EEviiPKT_S3_PS1_ii.kd
    .uniform_work_group_size: 1
    .uses_dynamic_stack: false
    .vgpr_count:     51
    .vgpr_spill_count: 0
    .wavefront_size: 32
  - .args:
      - .offset:         0
        .size:           4
        .value_kind:     by_value
      - .offset:         4
        .size:           4
        .value_kind:     by_value
      - .address_space:  global
        .offset:         8
        .size:           8
        .value_kind:     global_buffer
      - .actual_access:  read_only
        .address_space:  global
        .offset:         16
        .size:           8
        .value_kind:     global_buffer
      - .address_space:  global
        .offset:         24
        .size:           8
        .value_kind:     global_buffer
      - .offset:         32
        .size:           4
        .value_kind:     by_value
      - .offset:         36
        .size:           4
        .value_kind:     by_value
      - .offset:         40
        .size:           4
        .value_kind:     hidden_block_count_x
      - .offset:         44
        .size:           4
        .value_kind:     hidden_block_count_y
      - .offset:         48
        .size:           4
        .value_kind:     hidden_block_count_z
      - .offset:         52
        .size:           2
        .value_kind:     hidden_group_size_x
      - .offset:         54
        .size:           2
        .value_kind:     hidden_group_size_y
      - .offset:         56
        .size:           2
        .value_kind:     hidden_group_size_z
      - .offset:         58
        .size:           2
        .value_kind:     hidden_remainder_x
      - .offset:         60
        .size:           2
        .value_kind:     hidden_remainder_y
      - .offset:         62
        .size:           2
        .value_kind:     hidden_remainder_z
      - .offset:         80
        .size:           8
        .value_kind:     hidden_global_offset_x
      - .offset:         88
        .size:           8
        .value_kind:     hidden_global_offset_y
      - .offset:         96
        .size:           8
        .value_kind:     hidden_global_offset_z
      - .offset:         104
        .size:           2
        .value_kind:     hidden_grid_dims
      - .offset:         120
        .size:           8
        .value_kind:     hidden_hostcall_buffer
    .group_segment_fixed_size: 0
    .kernarg_segment_align: 8
    .kernarg_segment_size: 296
    .language:       OpenCL C
    .language_version:
      - 2
      - 0
    .max_flat_workgroup_size: 1024
    .name:           _Z16wvSplitK_hf_sml_I14__hip_bfloat16Li64ELi4ELi16ELi8ELi1ELi3EEviiPKT_S3_PS1_ii
    .private_segment_fixed_size: 64
    .sgpr_count:     36
    .sgpr_spill_count: 0
    .symbol:         _Z16wvSplitK_hf_sml_I14__hip_bfloat16Li64ELi4ELi16ELi8ELi1ELi3EEviiPKT_S3_PS1_ii.kd
    .uniform_work_group_size: 1
    .uses_dynamic_stack: false
    .vgpr_count:     51
    .vgpr_spill_count: 0
    .wavefront_size: 32
  - .args:
      - .offset:         0
        .size:           4
        .value_kind:     by_value
      - .offset:         4
        .size:           4
        .value_kind:     by_value
      - .address_space:  global
        .offset:         8
        .size:           8
        .value_kind:     global_buffer
      - .actual_access:  read_only
        .address_space:  global
        .offset:         16
        .size:           8
        .value_kind:     global_buffer
      - .address_space:  global
        .offset:         24
        .size:           8
        .value_kind:     global_buffer
      - .offset:         32
        .size:           4
        .value_kind:     by_value
      - .offset:         36
        .size:           4
        .value_kind:     by_value
      - .offset:         40
        .size:           4
        .value_kind:     hidden_block_count_x
      - .offset:         44
        .size:           4
        .value_kind:     hidden_block_count_y
      - .offset:         48
        .size:           4
        .value_kind:     hidden_block_count_z
      - .offset:         52
        .size:           2
        .value_kind:     hidden_group_size_x
      - .offset:         54
        .size:           2
        .value_kind:     hidden_group_size_y
      - .offset:         56
        .size:           2
        .value_kind:     hidden_group_size_z
      - .offset:         58
        .size:           2
        .value_kind:     hidden_remainder_x
      - .offset:         60
        .size:           2
        .value_kind:     hidden_remainder_y
      - .offset:         62
        .size:           2
        .value_kind:     hidden_remainder_z
      - .offset:         80
        .size:           8
        .value_kind:     hidden_global_offset_x
      - .offset:         88
        .size:           8
        .value_kind:     hidden_global_offset_y
      - .offset:         96
        .size:           8
        .value_kind:     hidden_global_offset_z
      - .offset:         104
        .size:           2
        .value_kind:     hidden_grid_dims
      - .offset:         120
        .size:           8
        .value_kind:     hidden_hostcall_buffer
    .group_segment_fixed_size: 0
    .kernarg_segment_align: 8
    .kernarg_segment_size: 296
    .language:       OpenCL C
    .language_version:
      - 2
      - 0
    .max_flat_workgroup_size: 1024
    .name:           _Z12wvSplitK_hf_I14__hip_bfloat16Li64ELi7ELi16ELi8ELi1ELi3EEviiPKT_S3_PS1_ii
    .private_segment_fixed_size: 64
    .sgpr_count:     36
    .sgpr_spill_count: 0
    .symbol:         _Z12wvSplitK_hf_I14__hip_bfloat16Li64ELi7ELi16ELi8ELi1ELi3EEviiPKT_S3_PS1_ii.kd
    .uniform_work_group_size: 1
    .uses_dynamic_stack: false
    .vgpr_count:     51
    .vgpr_spill_count: 0
    .wavefront_size: 32
  - .args:
      - .offset:         0
        .size:           4
        .value_kind:     by_value
      - .offset:         4
        .size:           4
        .value_kind:     by_value
      - .address_space:  global
        .offset:         8
        .size:           8
        .value_kind:     global_buffer
      - .actual_access:  read_only
        .address_space:  global
        .offset:         16
        .size:           8
        .value_kind:     global_buffer
      - .address_space:  global
        .offset:         24
        .size:           8
        .value_kind:     global_buffer
      - .offset:         32
        .size:           4
        .value_kind:     by_value
      - .offset:         36
        .size:           4
        .value_kind:     by_value
      - .offset:         40
        .size:           4
        .value_kind:     hidden_block_count_x
      - .offset:         44
        .size:           4
        .value_kind:     hidden_block_count_y
      - .offset:         48
        .size:           4
        .value_kind:     hidden_block_count_z
      - .offset:         52
        .size:           2
        .value_kind:     hidden_group_size_x
      - .offset:         54
        .size:           2
        .value_kind:     hidden_group_size_y
      - .offset:         56
        .size:           2
        .value_kind:     hidden_group_size_z
      - .offset:         58
        .size:           2
        .value_kind:     hidden_remainder_x
      - .offset:         60
        .size:           2
        .value_kind:     hidden_remainder_y
      - .offset:         62
        .size:           2
        .value_kind:     hidden_remainder_z
      - .offset:         80
        .size:           8
        .value_kind:     hidden_global_offset_x
      - .offset:         88
        .size:           8
        .value_kind:     hidden_global_offset_y
      - .offset:         96
        .size:           8
        .value_kind:     hidden_global_offset_z
      - .offset:         104
        .size:           2
        .value_kind:     hidden_grid_dims
      - .offset:         120
        .size:           8
        .value_kind:     hidden_hostcall_buffer
    .group_segment_fixed_size: 0
    .kernarg_segment_align: 8
    .kernarg_segment_size: 296
    .language:       OpenCL C
    .language_version:
      - 2
      - 0
    .max_flat_workgroup_size: 1024
    .name:           _Z16wvSplitK_hf_big_I14__hip_bfloat16Li64ELi7ELi16ELi8ELi1ELi3EEviiPKT_S3_PS1_ii
    .private_segment_fixed_size: 64
    .sgpr_count:     36
    .sgpr_spill_count: 0
    .symbol:         _Z16wvSplitK_hf_big_I14__hip_bfloat16Li64ELi7ELi16ELi8ELi1ELi3EEviiPKT_S3_PS1_ii.kd
    .uniform_work_group_size: 1
    .uses_dynamic_stack: false
    .vgpr_count:     51
    .vgpr_spill_count: 0
    .wavefront_size: 32
  - .args:
      - .offset:         0
        .size:           4
        .value_kind:     by_value
      - .offset:         4
        .size:           4
        .value_kind:     by_value
      - .address_space:  global
        .offset:         8
        .size:           8
        .value_kind:     global_buffer
      - .actual_access:  read_only
        .address_space:  global
        .offset:         16
        .size:           8
        .value_kind:     global_buffer
      - .address_space:  global
        .offset:         24
        .size:           8
        .value_kind:     global_buffer
      - .offset:         32
        .size:           4
        .value_kind:     by_value
      - .offset:         36
        .size:           4
        .value_kind:     by_value
      - .offset:         40
        .size:           4
        .value_kind:     hidden_block_count_x
      - .offset:         44
        .size:           4
        .value_kind:     hidden_block_count_y
      - .offset:         48
        .size:           4
        .value_kind:     hidden_block_count_z
      - .offset:         52
        .size:           2
        .value_kind:     hidden_group_size_x
      - .offset:         54
        .size:           2
        .value_kind:     hidden_group_size_y
      - .offset:         56
        .size:           2
        .value_kind:     hidden_group_size_z
      - .offset:         58
        .size:           2
        .value_kind:     hidden_remainder_x
      - .offset:         60
        .size:           2
        .value_kind:     hidden_remainder_y
      - .offset:         62
        .size:           2
        .value_kind:     hidden_remainder_z
      - .offset:         80
        .size:           8
        .value_kind:     hidden_global_offset_x
      - .offset:         88
        .size:           8
        .value_kind:     hidden_global_offset_y
      - .offset:         96
        .size:           8
        .value_kind:     hidden_global_offset_z
      - .offset:         104
        .size:           2
        .value_kind:     hidden_grid_dims
      - .offset:         120
        .size:           8
        .value_kind:     hidden_hostcall_buffer
    .group_segment_fixed_size: 0
    .kernarg_segment_align: 8
    .kernarg_segment_size: 296
    .language:       OpenCL C
    .language_version:
      - 2
      - 0
    .max_flat_workgroup_size: 1024
    .name:           _Z16wvSplitK_hf_sml_I14__hip_bfloat16Li64ELi4ELi16ELi8ELi1ELi4EEviiPKT_S3_PS1_ii
    .private_segment_fixed_size: 64
    .sgpr_count:     36
    .sgpr_spill_count: 0
    .symbol:         _Z16wvSplitK_hf_sml_I14__hip_bfloat16Li64ELi4ELi16ELi8ELi1ELi4EEviiPKT_S3_PS1_ii.kd
    .uniform_work_group_size: 1
    .uses_dynamic_stack: false
    .vgpr_count:     51
    .vgpr_spill_count: 0
    .wavefront_size: 32
  - .args:
      - .offset:         0
        .size:           4
        .value_kind:     by_value
      - .offset:         4
        .size:           4
        .value_kind:     by_value
      - .address_space:  global
        .offset:         8
        .size:           8
        .value_kind:     global_buffer
      - .actual_access:  read_only
        .address_space:  global
        .offset:         16
        .size:           8
        .value_kind:     global_buffer
      - .address_space:  global
        .offset:         24
        .size:           8
        .value_kind:     global_buffer
      - .offset:         32
        .size:           4
        .value_kind:     by_value
      - .offset:         36
        .size:           4
        .value_kind:     by_value
      - .offset:         40
        .size:           4
        .value_kind:     hidden_block_count_x
      - .offset:         44
        .size:           4
        .value_kind:     hidden_block_count_y
      - .offset:         48
        .size:           4
        .value_kind:     hidden_block_count_z
      - .offset:         52
        .size:           2
        .value_kind:     hidden_group_size_x
      - .offset:         54
        .size:           2
        .value_kind:     hidden_group_size_y
      - .offset:         56
        .size:           2
        .value_kind:     hidden_group_size_z
      - .offset:         58
        .size:           2
        .value_kind:     hidden_remainder_x
      - .offset:         60
        .size:           2
        .value_kind:     hidden_remainder_y
      - .offset:         62
        .size:           2
        .value_kind:     hidden_remainder_z
      - .offset:         80
        .size:           8
        .value_kind:     hidden_global_offset_x
      - .offset:         88
        .size:           8
        .value_kind:     hidden_global_offset_y
      - .offset:         96
        .size:           8
        .value_kind:     hidden_global_offset_z
      - .offset:         104
        .size:           2
        .value_kind:     hidden_grid_dims
      - .offset:         120
        .size:           8
        .value_kind:     hidden_hostcall_buffer
    .group_segment_fixed_size: 0
    .kernarg_segment_align: 8
    .kernarg_segment_size: 296
    .language:       OpenCL C
    .language_version:
      - 2
      - 0
    .max_flat_workgroup_size: 1024
    .name:           _Z12wvSplitK_hf_I14__hip_bfloat16Li64ELi7ELi16ELi8ELi1ELi4EEviiPKT_S3_PS1_ii
    .private_segment_fixed_size: 64
    .sgpr_count:     36
    .sgpr_spill_count: 0
    .symbol:         _Z12wvSplitK_hf_I14__hip_bfloat16Li64ELi7ELi16ELi8ELi1ELi4EEviiPKT_S3_PS1_ii.kd
    .uniform_work_group_size: 1
    .uses_dynamic_stack: false
    .vgpr_count:     51
    .vgpr_spill_count: 0
    .wavefront_size: 32
  - .args:
      - .offset:         0
        .size:           4
        .value_kind:     by_value
      - .offset:         4
        .size:           4
        .value_kind:     by_value
      - .address_space:  global
        .offset:         8
        .size:           8
        .value_kind:     global_buffer
      - .actual_access:  read_only
        .address_space:  global
        .offset:         16
        .size:           8
        .value_kind:     global_buffer
      - .address_space:  global
        .offset:         24
        .size:           8
        .value_kind:     global_buffer
      - .offset:         32
        .size:           4
        .value_kind:     by_value
      - .offset:         36
        .size:           4
        .value_kind:     by_value
      - .offset:         40
        .size:           4
        .value_kind:     hidden_block_count_x
      - .offset:         44
        .size:           4
        .value_kind:     hidden_block_count_y
      - .offset:         48
        .size:           4
        .value_kind:     hidden_block_count_z
      - .offset:         52
        .size:           2
        .value_kind:     hidden_group_size_x
      - .offset:         54
        .size:           2
        .value_kind:     hidden_group_size_y
      - .offset:         56
        .size:           2
        .value_kind:     hidden_group_size_z
      - .offset:         58
        .size:           2
        .value_kind:     hidden_remainder_x
      - .offset:         60
        .size:           2
        .value_kind:     hidden_remainder_y
      - .offset:         62
        .size:           2
        .value_kind:     hidden_remainder_z
      - .offset:         80
        .size:           8
        .value_kind:     hidden_global_offset_x
      - .offset:         88
        .size:           8
        .value_kind:     hidden_global_offset_y
      - .offset:         96
        .size:           8
        .value_kind:     hidden_global_offset_z
      - .offset:         104
        .size:           2
        .value_kind:     hidden_grid_dims
      - .offset:         120
        .size:           8
        .value_kind:     hidden_hostcall_buffer
    .group_segment_fixed_size: 0
    .kernarg_segment_align: 8
    .kernarg_segment_size: 296
    .language:       OpenCL C
    .language_version:
      - 2
      - 0
    .max_flat_workgroup_size: 1024
    .name:           _Z16wvSplitK_hf_big_I14__hip_bfloat16Li64ELi7ELi16ELi8ELi1ELi4EEviiPKT_S3_PS1_ii
    .private_segment_fixed_size: 64
    .sgpr_count:     36
    .sgpr_spill_count: 0
    .symbol:         _Z16wvSplitK_hf_big_I14__hip_bfloat16Li64ELi7ELi16ELi8ELi1ELi4EEviiPKT_S3_PS1_ii.kd
    .uniform_work_group_size: 1
    .uses_dynamic_stack: false
    .vgpr_count:     51
    .vgpr_spill_count: 0
    .wavefront_size: 32
  - .args:
      - .offset:         0
        .size:           4
        .value_kind:     by_value
      - .offset:         4
        .size:           4
        .value_kind:     by_value
      - .offset:         8
        .size:           4
        .value_kind:     by_value
      - .address_space:  global
        .offset:         16
        .size:           8
        .value_kind:     global_buffer
      - .actual_access:  read_only
        .address_space:  global
        .offset:         24
        .size:           8
        .value_kind:     global_buffer
      - .address_space:  global
        .offset:         32
        .size:           8
        .value_kind:     global_buffer
      - .actual_access:  read_only
        .address_space:  global
        .offset:         40
        .size:           8
        .value_kind:     global_buffer
      - .actual_access:  read_only
        .address_space:  global
        .offset:         48
        .size:           8
        .value_kind:     global_buffer
      - .offset:         56
        .size:           4
        .value_kind:     by_value
      - .offset:         60
        .size:           4
        .value_kind:     by_value
      - .offset:         64
        .size:           4
        .value_kind:     hidden_block_count_x
      - .offset:         68
        .size:           4
        .value_kind:     hidden_block_count_y
      - .offset:         72
        .size:           4
        .value_kind:     hidden_block_count_z
      - .offset:         76
        .size:           2
        .value_kind:     hidden_group_size_x
      - .offset:         78
        .size:           2
        .value_kind:     hidden_group_size_y
      - .offset:         80
        .size:           2
        .value_kind:     hidden_group_size_z
      - .offset:         82
        .size:           2
        .value_kind:     hidden_remainder_x
      - .offset:         84
        .size:           2
        .value_kind:     hidden_remainder_y
      - .offset:         86
        .size:           2
        .value_kind:     hidden_remainder_z
      - .offset:         104
        .size:           8
        .value_kind:     hidden_global_offset_x
      - .offset:         112
        .size:           8
        .value_kind:     hidden_global_offset_y
      - .offset:         120
        .size:           8
        .value_kind:     hidden_global_offset_z
      - .offset:         128
        .size:           2
        .value_kind:     hidden_grid_dims
      - .offset:         144
        .size:           8
        .value_kind:     hidden_hostcall_buffer
    .group_segment_fixed_size: 0
    .kernarg_segment_align: 8
    .kernarg_segment_size: 320
    .language:       OpenCL C
    .language_version:
      - 2
      - 0
    .max_flat_workgroup_size: 1024
    .name:           _Z17wvSplitKQ_hf_sml_I6__halfN3c1013Float8_e4m3fnELi64ELi2ELi16ELi16ELi2ELi1EEviiiPKT0_S5_PT_PKfS9_ii
    .private_segment_fixed_size: 64
    .sgpr_count:     36
    .sgpr_spill_count: 0
    .symbol:         _Z17wvSplitKQ_hf_sml_I6__halfN3c1013Float8_e4m3fnELi64ELi2ELi16ELi16ELi2ELi1EEviiiPKT0_S5_PT_PKfS9_ii.kd
    .uniform_work_group_size: 1
    .uses_dynamic_stack: false
    .vgpr_count:     51
    .vgpr_spill_count: 0
    .wavefront_size: 32
  - .args:
      - .offset:         0
        .size:           4
        .value_kind:     by_value
      - .offset:         4
        .size:           4
        .value_kind:     by_value
      - .offset:         8
        .size:           4
        .value_kind:     by_value
      - .address_space:  global
        .offset:         16
        .size:           8
        .value_kind:     global_buffer
      - .actual_access:  read_only
        .address_space:  global
        .offset:         24
        .size:           8
        .value_kind:     global_buffer
      - .address_space:  global
        .offset:         32
        .size:           8
        .value_kind:     global_buffer
      - .actual_access:  read_only
        .address_space:  global
        .offset:         40
        .size:           8
        .value_kind:     global_buffer
      - .actual_access:  read_only
        .address_space:  global
        .offset:         48
        .size:           8
        .value_kind:     global_buffer
      - .offset:         56
        .size:           4
        .value_kind:     by_value
      - .offset:         60
        .size:           4
        .value_kind:     by_value
      - .offset:         64
        .size:           4
        .value_kind:     hidden_block_count_x
      - .offset:         68
        .size:           4
        .value_kind:     hidden_block_count_y
      - .offset:         72
        .size:           4
        .value_kind:     hidden_block_count_z
      - .offset:         76
        .size:           2
        .value_kind:     hidden_group_size_x
      - .offset:         78
        .size:           2
        .value_kind:     hidden_group_size_y
      - .offset:         80
        .size:           2
        .value_kind:     hidden_group_size_z
      - .offset:         82
        .size:           2
        .value_kind:     hidden_remainder_x
      - .offset:         84
        .size:           2
        .value_kind:     hidden_remainder_y
      - .offset:         86
        .size:           2
        .value_kind:     hidden_remainder_z
      - .offset:         104
        .size:           8
        .value_kind:     hidden_global_offset_x
      - .offset:         112
        .size:           8
        .value_kind:     hidden_global_offset_y
      - .offset:         120
        .size:           8
        .value_kind:     hidden_global_offset_z
      - .offset:         128
        .size:           2
        .value_kind:     hidden_grid_dims
      - .offset:         144
        .size:           8
        .value_kind:     hidden_hostcall_buffer
    .group_segment_fixed_size: 0
    .kernarg_segment_align: 8
    .kernarg_segment_size: 320
    .language:       OpenCL C
    .language_version:
      - 2
      - 0
    .max_flat_workgroup_size: 1024
    .name:           _Z13wvSplitKQ_hf_I6__halfN3c1013Float8_e4m3fnELi64ELi2ELi16ELi16ELi2ELi1EEviiiPKT0_S5_PT_PKfS9_ii
    .private_segment_fixed_size: 64
    .sgpr_count:     36
    .sgpr_spill_count: 0
    .symbol:         _Z13wvSplitKQ_hf_I6__halfN3c1013Float8_e4m3fnELi64ELi2ELi16ELi16ELi2ELi1EEviiiPKT0_S5_PT_PKfS9_ii.kd
    .uniform_work_group_size: 1
    .uses_dynamic_stack: false
    .vgpr_count:     51
    .vgpr_spill_count: 0
    .wavefront_size: 32
  - .args:
      - .offset:         0
        .size:           4
        .value_kind:     by_value
      - .offset:         4
        .size:           4
        .value_kind:     by_value
      - .offset:         8
        .size:           4
        .value_kind:     by_value
      - .address_space:  global
        .offset:         16
        .size:           8
        .value_kind:     global_buffer
      - .actual_access:  read_only
        .address_space:  global
        .offset:         24
        .size:           8
        .value_kind:     global_buffer
      - .address_space:  global
        .offset:         32
        .size:           8
        .value_kind:     global_buffer
      - .actual_access:  read_only
        .address_space:  global
        .offset:         40
        .size:           8
        .value_kind:     global_buffer
      - .actual_access:  read_only
        .address_space:  global
        .offset:         48
        .size:           8
        .value_kind:     global_buffer
      - .offset:         56
        .size:           4
        .value_kind:     by_value
      - .offset:         60
        .size:           4
        .value_kind:     by_value
      - .offset:         64
        .size:           4
        .value_kind:     hidden_block_count_x
      - .offset:         68
        .size:           4
        .value_kind:     hidden_block_count_y
      - .offset:         72
        .size:           4
        .value_kind:     hidden_block_count_z
      - .offset:         76
        .size:           2
        .value_kind:     hidden_group_size_x
      - .offset:         78
        .size:           2
        .value_kind:     hidden_group_size_y
      - .offset:         80
        .size:           2
        .value_kind:     hidden_group_size_z
      - .offset:         82
        .size:           2
        .value_kind:     hidden_remainder_x
      - .offset:         84
        .size:           2
        .value_kind:     hidden_remainder_y
      - .offset:         86
        .size:           2
        .value_kind:     hidden_remainder_z
      - .offset:         104
        .size:           8
        .value_kind:     hidden_global_offset_x
      - .offset:         112
        .size:           8
        .value_kind:     hidden_global_offset_y
      - .offset:         120
        .size:           8
        .value_kind:     hidden_global_offset_z
      - .offset:         128
        .size:           2
        .value_kind:     hidden_grid_dims
      - .offset:         144
        .size:           8
        .value_kind:     hidden_hostcall_buffer
    .group_segment_fixed_size: 0
    .kernarg_segment_align: 8
    .kernarg_segment_size: 320
    .language:       OpenCL C
    .language_version:
      - 2
      - 0
    .max_flat_workgroup_size: 1024
    .name:           _Z17wvSplitKQ_hf_sml_I6__halfN3c1013Float8_e4m3fnELi64ELi2ELi16ELi16ELi2ELi2EEviiiPKT0_S5_PT_PKfS9_ii
    .private_segment_fixed_size: 64
    .sgpr_count:     36
    .sgpr_spill_count: 0
    .symbol:         _Z17wvSplitKQ_hf_sml_I6__halfN3c1013Float8_e4m3fnELi64ELi2ELi16ELi16ELi2ELi2EEviiiPKT0_S5_PT_PKfS9_ii.kd
    .uniform_work_group_size: 1
    .uses_dynamic_stack: false
    .vgpr_count:     51
    .vgpr_spill_count: 0
    .wavefront_size: 32
  - .args:
      - .offset:         0
        .size:           4
        .value_kind:     by_value
      - .offset:         4
        .size:           4
        .value_kind:     by_value
      - .offset:         8
        .size:           4
        .value_kind:     by_value
      - .address_space:  global
        .offset:         16
        .size:           8
        .value_kind:     global_buffer
      - .actual_access:  read_only
        .address_space:  global
        .offset:         24
        .size:           8
        .value_kind:     global_buffer
      - .address_space:  global
        .offset:         32
        .size:           8
        .value_kind:     global_buffer
      - .actual_access:  read_only
        .address_space:  global
        .offset:         40
        .size:           8
        .value_kind:     global_buffer
      - .actual_access:  read_only
        .address_space:  global
        .offset:         48
        .size:           8
        .value_kind:     global_buffer
      - .offset:         56
        .size:           4
        .value_kind:     by_value
      - .offset:         60
        .size:           4
        .value_kind:     by_value
      - .offset:         64
        .size:           4
        .value_kind:     hidden_block_count_x
      - .offset:         68
        .size:           4
        .value_kind:     hidden_block_count_y
      - .offset:         72
        .size:           4
        .value_kind:     hidden_block_count_z
      - .offset:         76
        .size:           2
        .value_kind:     hidden_group_size_x
      - .offset:         78
        .size:           2
        .value_kind:     hidden_group_size_y
      - .offset:         80
        .size:           2
        .value_kind:     hidden_group_size_z
      - .offset:         82
        .size:           2
        .value_kind:     hidden_remainder_x
      - .offset:         84
        .size:           2
        .value_kind:     hidden_remainder_y
      - .offset:         86
        .size:           2
        .value_kind:     hidden_remainder_z
      - .offset:         104
        .size:           8
        .value_kind:     hidden_global_offset_x
      - .offset:         112
        .size:           8
        .value_kind:     hidden_global_offset_y
      - .offset:         120
        .size:           8
        .value_kind:     hidden_global_offset_z
      - .offset:         128
        .size:           2
        .value_kind:     hidden_grid_dims
      - .offset:         144
        .size:           8
        .value_kind:     hidden_hostcall_buffer
    .group_segment_fixed_size: 0
    .kernarg_segment_align: 8
    .kernarg_segment_size: 320
    .language:       OpenCL C
    .language_version:
      - 2
      - 0
    .max_flat_workgroup_size: 1024
    .name:           _Z13wvSplitKQ_hf_I6__halfN3c1013Float8_e4m3fnELi64ELi2ELi16ELi16ELi2ELi2EEviiiPKT0_S5_PT_PKfS9_ii
    .private_segment_fixed_size: 64
    .sgpr_count:     36
    .sgpr_spill_count: 0
    .symbol:         _Z13wvSplitKQ_hf_I6__halfN3c1013Float8_e4m3fnELi64ELi2ELi16ELi16ELi2ELi2EEviiiPKT0_S5_PT_PKfS9_ii.kd
    .uniform_work_group_size: 1
    .uses_dynamic_stack: false
    .vgpr_count:     51
    .vgpr_spill_count: 0
    .wavefront_size: 32
  - .args:
      - .offset:         0
        .size:           4
        .value_kind:     by_value
      - .offset:         4
        .size:           4
        .value_kind:     by_value
      - .offset:         8
        .size:           4
        .value_kind:     by_value
      - .address_space:  global
        .offset:         16
        .size:           8
        .value_kind:     global_buffer
      - .actual_access:  read_only
        .address_space:  global
        .offset:         24
        .size:           8
        .value_kind:     global_buffer
      - .address_space:  global
        .offset:         32
        .size:           8
        .value_kind:     global_buffer
      - .actual_access:  read_only
        .address_space:  global
        .offset:         40
        .size:           8
        .value_kind:     global_buffer
      - .actual_access:  read_only
        .address_space:  global
        .offset:         48
        .size:           8
        .value_kind:     global_buffer
      - .offset:         56
        .size:           4
        .value_kind:     by_value
      - .offset:         60
        .size:           4
        .value_kind:     by_value
      - .offset:         64
        .size:           4
        .value_kind:     hidden_block_count_x
      - .offset:         68
        .size:           4
        .value_kind:     hidden_block_count_y
      - .offset:         72
        .size:           4
        .value_kind:     hidden_block_count_z
      - .offset:         76
        .size:           2
        .value_kind:     hidden_group_size_x
      - .offset:         78
        .size:           2
        .value_kind:     hidden_group_size_y
      - .offset:         80
        .size:           2
        .value_kind:     hidden_group_size_z
      - .offset:         82
        .size:           2
        .value_kind:     hidden_remainder_x
      - .offset:         84
        .size:           2
        .value_kind:     hidden_remainder_y
      - .offset:         86
        .size:           2
        .value_kind:     hidden_remainder_z
      - .offset:         104
        .size:           8
        .value_kind:     hidden_global_offset_x
      - .offset:         112
        .size:           8
        .value_kind:     hidden_global_offset_y
      - .offset:         120
        .size:           8
        .value_kind:     hidden_global_offset_z
      - .offset:         128
        .size:           2
        .value_kind:     hidden_grid_dims
      - .offset:         144
        .size:           8
        .value_kind:     hidden_hostcall_buffer
    .group_segment_fixed_size: 0
    .kernarg_segment_align: 8
    .kernarg_segment_size: 320
    .language:       OpenCL C
    .language_version:
      - 2
      - 0
    .max_flat_workgroup_size: 1024
    .name:           _Z17wvSplitKQ_hf_sml_I6__halfN3c1013Float8_e4m3fnELi64ELi4ELi16ELi16ELi1ELi3EEviiiPKT0_S5_PT_PKfS9_ii
    .private_segment_fixed_size: 64
    .sgpr_count:     36
    .sgpr_spill_count: 0
    .symbol:         _Z17wvSplitKQ_hf_sml_I6__halfN3c1013Float8_e4m3fnELi64ELi4ELi16ELi16ELi1ELi3EEviiiPKT0_S5_PT_PKfS9_ii.kd
    .uniform_work_group_size: 1
    .uses_dynamic_stack: false
    .vgpr_count:     51
    .vgpr_spill_count: 0
    .wavefront_size: 32
  - .args:
      - .offset:         0
        .size:           4
        .value_kind:     by_value
      - .offset:         4
        .size:           4
        .value_kind:     by_value
      - .offset:         8
        .size:           4
        .value_kind:     by_value
      - .address_space:  global
        .offset:         16
        .size:           8
        .value_kind:     global_buffer
      - .actual_access:  read_only
        .address_space:  global
        .offset:         24
        .size:           8
        .value_kind:     global_buffer
      - .address_space:  global
        .offset:         32
        .size:           8
        .value_kind:     global_buffer
      - .actual_access:  read_only
        .address_space:  global
        .offset:         40
        .size:           8
        .value_kind:     global_buffer
      - .actual_access:  read_only
        .address_space:  global
        .offset:         48
        .size:           8
        .value_kind:     global_buffer
      - .offset:         56
        .size:           4
        .value_kind:     by_value
      - .offset:         60
        .size:           4
        .value_kind:     by_value
      - .offset:         64
        .size:           4
        .value_kind:     hidden_block_count_x
      - .offset:         68
        .size:           4
        .value_kind:     hidden_block_count_y
      - .offset:         72
        .size:           4
        .value_kind:     hidden_block_count_z
      - .offset:         76
        .size:           2
        .value_kind:     hidden_group_size_x
      - .offset:         78
        .size:           2
        .value_kind:     hidden_group_size_y
      - .offset:         80
        .size:           2
        .value_kind:     hidden_group_size_z
      - .offset:         82
        .size:           2
        .value_kind:     hidden_remainder_x
      - .offset:         84
        .size:           2
        .value_kind:     hidden_remainder_y
      - .offset:         86
        .size:           2
        .value_kind:     hidden_remainder_z
      - .offset:         104
        .size:           8
        .value_kind:     hidden_global_offset_x
      - .offset:         112
        .size:           8
        .value_kind:     hidden_global_offset_y
      - .offset:         120
        .size:           8
        .value_kind:     hidden_global_offset_z
      - .offset:         128
        .size:           2
        .value_kind:     hidden_grid_dims
      - .offset:         144
        .size:           8
        .value_kind:     hidden_hostcall_buffer
    .group_segment_fixed_size: 0
    .kernarg_segment_align: 8
    .kernarg_segment_size: 320
    .language:       OpenCL C
    .language_version:
      - 2
      - 0
    .max_flat_workgroup_size: 1024
    .name:           _Z13wvSplitKQ_hf_I6__halfN3c1013Float8_e4m3fnELi64ELi7ELi16ELi16ELi1ELi3EEviiiPKT0_S5_PT_PKfS9_ii
    .private_segment_fixed_size: 64
    .sgpr_count:     36
    .sgpr_spill_count: 0
    .symbol:         _Z13wvSplitKQ_hf_I6__halfN3c1013Float8_e4m3fnELi64ELi7ELi16ELi16ELi1ELi3EEviiiPKT0_S5_PT_PKfS9_ii.kd
    .uniform_work_group_size: 1
    .uses_dynamic_stack: false
    .vgpr_count:     51
    .vgpr_spill_count: 0
    .wavefront_size: 32
  - .args:
      - .offset:         0
        .size:           4
        .value_kind:     by_value
      - .offset:         4
        .size:           4
        .value_kind:     by_value
      - .offset:         8
        .size:           4
        .value_kind:     by_value
      - .address_space:  global
        .offset:         16
        .size:           8
        .value_kind:     global_buffer
      - .actual_access:  read_only
        .address_space:  global
        .offset:         24
        .size:           8
        .value_kind:     global_buffer
      - .address_space:  global
        .offset:         32
        .size:           8
        .value_kind:     global_buffer
      - .actual_access:  read_only
        .address_space:  global
        .offset:         40
        .size:           8
        .value_kind:     global_buffer
      - .actual_access:  read_only
        .address_space:  global
        .offset:         48
        .size:           8
        .value_kind:     global_buffer
      - .offset:         56
        .size:           4
        .value_kind:     by_value
      - .offset:         60
        .size:           4
        .value_kind:     by_value
      - .offset:         64
        .size:           4
        .value_kind:     hidden_block_count_x
      - .offset:         68
        .size:           4
        .value_kind:     hidden_block_count_y
      - .offset:         72
        .size:           4
        .value_kind:     hidden_block_count_z
      - .offset:         76
        .size:           2
        .value_kind:     hidden_group_size_x
      - .offset:         78
        .size:           2
        .value_kind:     hidden_group_size_y
      - .offset:         80
        .size:           2
        .value_kind:     hidden_group_size_z
      - .offset:         82
        .size:           2
        .value_kind:     hidden_remainder_x
      - .offset:         84
        .size:           2
        .value_kind:     hidden_remainder_y
      - .offset:         86
        .size:           2
        .value_kind:     hidden_remainder_z
      - .offset:         104
        .size:           8
        .value_kind:     hidden_global_offset_x
      - .offset:         112
        .size:           8
        .value_kind:     hidden_global_offset_y
      - .offset:         120
        .size:           8
        .value_kind:     hidden_global_offset_z
      - .offset:         128
        .size:           2
        .value_kind:     hidden_grid_dims
      - .offset:         144
        .size:           8
        .value_kind:     hidden_hostcall_buffer
    .group_segment_fixed_size: 0
    .kernarg_segment_align: 8
    .kernarg_segment_size: 320
    .language:       OpenCL C
    .language_version:
      - 2
      - 0
    .max_flat_workgroup_size: 1024
    .name:           _Z17wvSplitKQ_hf_sml_I6__halfN3c1013Float8_e4m3fnELi64ELi4ELi16ELi16ELi1ELi4EEviiiPKT0_S5_PT_PKfS9_ii
    .private_segment_fixed_size: 64
    .sgpr_count:     36
    .sgpr_spill_count: 0
    .symbol:         _Z17wvSplitKQ_hf_sml_I6__halfN3c1013Float8_e4m3fnELi64ELi4ELi16ELi16ELi1ELi4EEviiiPKT0_S5_PT_PKfS9_ii.kd
    .uniform_work_group_size: 1
    .uses_dynamic_stack: false
    .vgpr_count:     51
    .vgpr_spill_count: 0
    .wavefront_size: 32
  - .args:
      - .offset:         0
        .size:           4
        .value_kind:     by_value
      - .offset:         4
        .size:           4
        .value_kind:     by_value
      - .offset:         8
        .size:           4
        .value_kind:     by_value
      - .address_space:  global
        .offset:         16
        .size:           8
        .value_kind:     global_buffer
      - .actual_access:  read_only
        .address_space:  global
        .offset:         24
        .size:           8
        .value_kind:     global_buffer
      - .address_space:  global
        .offset:         32
        .size:           8
        .value_kind:     global_buffer
      - .actual_access:  read_only
        .address_space:  global
        .offset:         40
        .size:           8
        .value_kind:     global_buffer
      - .actual_access:  read_only
        .address_space:  global
        .offset:         48
        .size:           8
        .value_kind:     global_buffer
      - .offset:         56
        .size:           4
        .value_kind:     by_value
      - .offset:         60
        .size:           4
        .value_kind:     by_value
      - .offset:         64
        .size:           4
        .value_kind:     hidden_block_count_x
      - .offset:         68
        .size:           4
        .value_kind:     hidden_block_count_y
      - .offset:         72
        .size:           4
        .value_kind:     hidden_block_count_z
      - .offset:         76
        .size:           2
        .value_kind:     hidden_group_size_x
      - .offset:         78
        .size:           2
        .value_kind:     hidden_group_size_y
      - .offset:         80
        .size:           2
        .value_kind:     hidden_group_size_z
      - .offset:         82
        .size:           2
        .value_kind:     hidden_remainder_x
      - .offset:         84
        .size:           2
        .value_kind:     hidden_remainder_y
      - .offset:         86
        .size:           2
        .value_kind:     hidden_remainder_z
      - .offset:         104
        .size:           8
        .value_kind:     hidden_global_offset_x
      - .offset:         112
        .size:           8
        .value_kind:     hidden_global_offset_y
      - .offset:         120
        .size:           8
        .value_kind:     hidden_global_offset_z
      - .offset:         128
        .size:           2
        .value_kind:     hidden_grid_dims
      - .offset:         144
        .size:           8
        .value_kind:     hidden_hostcall_buffer
    .group_segment_fixed_size: 0
    .kernarg_segment_align: 8
    .kernarg_segment_size: 320
    .language:       OpenCL C
    .language_version:
      - 2
      - 0
    .max_flat_workgroup_size: 1024
    .name:           _Z13wvSplitKQ_hf_I6__halfN3c1013Float8_e4m3fnELi64ELi7ELi16ELi16ELi1ELi4EEviiiPKT0_S5_PT_PKfS9_ii
    .private_segment_fixed_size: 64
    .sgpr_count:     36
    .sgpr_spill_count: 0
    .symbol:         _Z13wvSplitKQ_hf_I6__halfN3c1013Float8_e4m3fnELi64ELi7ELi16ELi16ELi1ELi4EEviiiPKT0_S5_PT_PKfS9_ii.kd
    .uniform_work_group_size: 1
    .uses_dynamic_stack: false
    .vgpr_count:     51
    .vgpr_spill_count: 0
    .wavefront_size: 32
  - .args:
      - .offset:         0
        .size:           4
        .value_kind:     by_value
      - .offset:         4
        .size:           4
        .value_kind:     by_value
      - .offset:         8
        .size:           4
        .value_kind:     by_value
      - .address_space:  global
        .offset:         16
        .size:           8
        .value_kind:     global_buffer
      - .actual_access:  read_only
        .address_space:  global
        .offset:         24
        .size:           8
        .value_kind:     global_buffer
      - .address_space:  global
        .offset:         32
        .size:           8
        .value_kind:     global_buffer
      - .actual_access:  read_only
        .address_space:  global
        .offset:         40
        .size:           8
        .value_kind:     global_buffer
      - .actual_access:  read_only
        .address_space:  global
        .offset:         48
        .size:           8
        .value_kind:     global_buffer
      - .offset:         56
        .size:           4
        .value_kind:     by_value
      - .offset:         60
        .size:           4
        .value_kind:     by_value
      - .offset:         64
        .size:           4
        .value_kind:     hidden_block_count_x
      - .offset:         68
        .size:           4
        .value_kind:     hidden_block_count_y
      - .offset:         72
        .size:           4
        .value_kind:     hidden_block_count_z
      - .offset:         76
        .size:           2
        .value_kind:     hidden_group_size_x
      - .offset:         78
        .size:           2
        .value_kind:     hidden_group_size_y
      - .offset:         80
        .size:           2
        .value_kind:     hidden_group_size_z
      - .offset:         82
        .size:           2
        .value_kind:     hidden_remainder_x
      - .offset:         84
        .size:           2
        .value_kind:     hidden_remainder_y
      - .offset:         86
        .size:           2
        .value_kind:     hidden_remainder_z
      - .offset:         104
        .size:           8
        .value_kind:     hidden_global_offset_x
      - .offset:         112
        .size:           8
        .value_kind:     hidden_global_offset_y
      - .offset:         120
        .size:           8
        .value_kind:     hidden_global_offset_z
      - .offset:         128
        .size:           2
        .value_kind:     hidden_grid_dims
      - .offset:         144
        .size:           8
        .value_kind:     hidden_hostcall_buffer
    .group_segment_fixed_size: 0
    .kernarg_segment_align: 8
    .kernarg_segment_size: 320
    .language:       OpenCL C
    .language_version:
      - 2
      - 0
    .max_flat_workgroup_size: 1024
    .name:           _Z17wvSplitKQ_hf_sml_I6__halfN3c1015Float8_e4m3fnuzELi64ELi2ELi16ELi16ELi2ELi1EEviiiPKT0_S5_PT_PKfS9_ii
    .private_segment_fixed_size: 64
    .sgpr_count:     36
    .sgpr_spill_count: 0
    .symbol:         _Z17wvSplitKQ_hf_sml_I6__halfN3c1015Float8_e4m3fnuzELi64ELi2ELi16ELi16ELi2ELi1EEviiiPKT0_S5_PT_PKfS9_ii.kd
    .uniform_work_group_size: 1
    .uses_dynamic_stack: false
    .vgpr_count:     51
    .vgpr_spill_count: 0
    .wavefront_size: 32
  - .args:
      - .offset:         0
        .size:           4
        .value_kind:     by_value
      - .offset:         4
        .size:           4
        .value_kind:     by_value
      - .offset:         8
        .size:           4
        .value_kind:     by_value
      - .address_space:  global
        .offset:         16
        .size:           8
        .value_kind:     global_buffer
      - .actual_access:  read_only
        .address_space:  global
        .offset:         24
        .size:           8
        .value_kind:     global_buffer
      - .address_space:  global
        .offset:         32
        .size:           8
        .value_kind:     global_buffer
      - .actual_access:  read_only
        .address_space:  global
        .offset:         40
        .size:           8
        .value_kind:     global_buffer
      - .actual_access:  read_only
        .address_space:  global
        .offset:         48
        .size:           8
        .value_kind:     global_buffer
      - .offset:         56
        .size:           4
        .value_kind:     by_value
      - .offset:         60
        .size:           4
        .value_kind:     by_value
      - .offset:         64
        .size:           4
        .value_kind:     hidden_block_count_x
      - .offset:         68
        .size:           4
        .value_kind:     hidden_block_count_y
      - .offset:         72
        .size:           4
        .value_kind:     hidden_block_count_z
      - .offset:         76
        .size:           2
        .value_kind:     hidden_group_size_x
      - .offset:         78
        .size:           2
        .value_kind:     hidden_group_size_y
      - .offset:         80
        .size:           2
        .value_kind:     hidden_group_size_z
      - .offset:         82
        .size:           2
        .value_kind:     hidden_remainder_x
      - .offset:         84
        .size:           2
        .value_kind:     hidden_remainder_y
      - .offset:         86
        .size:           2
        .value_kind:     hidden_remainder_z
      - .offset:         104
        .size:           8
        .value_kind:     hidden_global_offset_x
      - .offset:         112
        .size:           8
        .value_kind:     hidden_global_offset_y
      - .offset:         120
        .size:           8
        .value_kind:     hidden_global_offset_z
      - .offset:         128
        .size:           2
        .value_kind:     hidden_grid_dims
      - .offset:         144
        .size:           8
        .value_kind:     hidden_hostcall_buffer
    .group_segment_fixed_size: 0
    .kernarg_segment_align: 8
    .kernarg_segment_size: 320
    .language:       OpenCL C
    .language_version:
      - 2
      - 0
    .max_flat_workgroup_size: 1024
    .name:           _Z13wvSplitKQ_hf_I6__halfN3c1015Float8_e4m3fnuzELi64ELi2ELi16ELi16ELi2ELi1EEviiiPKT0_S5_PT_PKfS9_ii
    .private_segment_fixed_size: 64
    .sgpr_count:     36
    .sgpr_spill_count: 0
    .symbol:         _Z13wvSplitKQ_hf_I6__halfN3c1015Float8_e4m3fnuzELi64ELi2ELi16ELi16ELi2ELi1EEviiiPKT0_S5_PT_PKfS9_ii.kd
    .uniform_work_group_size: 1
    .uses_dynamic_stack: false
    .vgpr_count:     51
    .vgpr_spill_count: 0
    .wavefront_size: 32
  - .args:
      - .offset:         0
        .size:           4
        .value_kind:     by_value
      - .offset:         4
        .size:           4
        .value_kind:     by_value
      - .offset:         8
        .size:           4
        .value_kind:     by_value
      - .address_space:  global
        .offset:         16
        .size:           8
        .value_kind:     global_buffer
      - .actual_access:  read_only
        .address_space:  global
        .offset:         24
        .size:           8
        .value_kind:     global_buffer
      - .address_space:  global
        .offset:         32
        .size:           8
        .value_kind:     global_buffer
      - .actual_access:  read_only
        .address_space:  global
        .offset:         40
        .size:           8
        .value_kind:     global_buffer
      - .actual_access:  read_only
        .address_space:  global
        .offset:         48
        .size:           8
        .value_kind:     global_buffer
      - .offset:         56
        .size:           4
        .value_kind:     by_value
      - .offset:         60
        .size:           4
        .value_kind:     by_value
      - .offset:         64
        .size:           4
        .value_kind:     hidden_block_count_x
      - .offset:         68
        .size:           4
        .value_kind:     hidden_block_count_y
      - .offset:         72
        .size:           4
        .value_kind:     hidden_block_count_z
      - .offset:         76
        .size:           2
        .value_kind:     hidden_group_size_x
      - .offset:         78
        .size:           2
        .value_kind:     hidden_group_size_y
      - .offset:         80
        .size:           2
        .value_kind:     hidden_group_size_z
      - .offset:         82
        .size:           2
        .value_kind:     hidden_remainder_x
      - .offset:         84
        .size:           2
        .value_kind:     hidden_remainder_y
      - .offset:         86
        .size:           2
        .value_kind:     hidden_remainder_z
      - .offset:         104
        .size:           8
        .value_kind:     hidden_global_offset_x
      - .offset:         112
        .size:           8
        .value_kind:     hidden_global_offset_y
      - .offset:         120
        .size:           8
        .value_kind:     hidden_global_offset_z
      - .offset:         128
        .size:           2
        .value_kind:     hidden_grid_dims
      - .offset:         144
        .size:           8
        .value_kind:     hidden_hostcall_buffer
    .group_segment_fixed_size: 0
    .kernarg_segment_align: 8
    .kernarg_segment_size: 320
    .language:       OpenCL C
    .language_version:
      - 2
      - 0
    .max_flat_workgroup_size: 1024
    .name:           _Z17wvSplitKQ_hf_sml_I6__halfN3c1015Float8_e4m3fnuzELi64ELi2ELi16ELi16ELi2ELi2EEviiiPKT0_S5_PT_PKfS9_ii
    .private_segment_fixed_size: 64
    .sgpr_count:     36
    .sgpr_spill_count: 0
    .symbol:         _Z17wvSplitKQ_hf_sml_I6__halfN3c1015Float8_e4m3fnuzELi64ELi2ELi16ELi16ELi2ELi2EEviiiPKT0_S5_PT_PKfS9_ii.kd
    .uniform_work_group_size: 1
    .uses_dynamic_stack: false
    .vgpr_count:     51
    .vgpr_spill_count: 0
    .wavefront_size: 32
  - .args:
      - .offset:         0
        .size:           4
        .value_kind:     by_value
      - .offset:         4
        .size:           4
        .value_kind:     by_value
      - .offset:         8
        .size:           4
        .value_kind:     by_value
      - .address_space:  global
        .offset:         16
        .size:           8
        .value_kind:     global_buffer
      - .actual_access:  read_only
        .address_space:  global
        .offset:         24
        .size:           8
        .value_kind:     global_buffer
      - .address_space:  global
        .offset:         32
        .size:           8
        .value_kind:     global_buffer
      - .actual_access:  read_only
        .address_space:  global
        .offset:         40
        .size:           8
        .value_kind:     global_buffer
      - .actual_access:  read_only
        .address_space:  global
        .offset:         48
        .size:           8
        .value_kind:     global_buffer
      - .offset:         56
        .size:           4
        .value_kind:     by_value
      - .offset:         60
        .size:           4
        .value_kind:     by_value
      - .offset:         64
        .size:           4
        .value_kind:     hidden_block_count_x
      - .offset:         68
        .size:           4
        .value_kind:     hidden_block_count_y
      - .offset:         72
        .size:           4
        .value_kind:     hidden_block_count_z
      - .offset:         76
        .size:           2
        .value_kind:     hidden_group_size_x
      - .offset:         78
        .size:           2
        .value_kind:     hidden_group_size_y
      - .offset:         80
        .size:           2
        .value_kind:     hidden_group_size_z
      - .offset:         82
        .size:           2
        .value_kind:     hidden_remainder_x
      - .offset:         84
        .size:           2
        .value_kind:     hidden_remainder_y
      - .offset:         86
        .size:           2
        .value_kind:     hidden_remainder_z
      - .offset:         104
        .size:           8
        .value_kind:     hidden_global_offset_x
      - .offset:         112
        .size:           8
        .value_kind:     hidden_global_offset_y
      - .offset:         120
        .size:           8
        .value_kind:     hidden_global_offset_z
      - .offset:         128
        .size:           2
        .value_kind:     hidden_grid_dims
      - .offset:         144
        .size:           8
        .value_kind:     hidden_hostcall_buffer
    .group_segment_fixed_size: 0
    .kernarg_segment_align: 8
    .kernarg_segment_size: 320
    .language:       OpenCL C
    .language_version:
      - 2
      - 0
    .max_flat_workgroup_size: 1024
    .name:           _Z13wvSplitKQ_hf_I6__halfN3c1015Float8_e4m3fnuzELi64ELi2ELi16ELi16ELi2ELi2EEviiiPKT0_S5_PT_PKfS9_ii
    .private_segment_fixed_size: 64
    .sgpr_count:     36
    .sgpr_spill_count: 0
    .symbol:         _Z13wvSplitKQ_hf_I6__halfN3c1015Float8_e4m3fnuzELi64ELi2ELi16ELi16ELi2ELi2EEviiiPKT0_S5_PT_PKfS9_ii.kd
    .uniform_work_group_size: 1
    .uses_dynamic_stack: false
    .vgpr_count:     51
    .vgpr_spill_count: 0
    .wavefront_size: 32
  - .args:
      - .offset:         0
        .size:           4
        .value_kind:     by_value
      - .offset:         4
        .size:           4
        .value_kind:     by_value
      - .offset:         8
        .size:           4
        .value_kind:     by_value
      - .address_space:  global
        .offset:         16
        .size:           8
        .value_kind:     global_buffer
      - .actual_access:  read_only
        .address_space:  global
        .offset:         24
        .size:           8
        .value_kind:     global_buffer
      - .address_space:  global
        .offset:         32
        .size:           8
        .value_kind:     global_buffer
      - .actual_access:  read_only
        .address_space:  global
        .offset:         40
        .size:           8
        .value_kind:     global_buffer
      - .actual_access:  read_only
        .address_space:  global
        .offset:         48
        .size:           8
        .value_kind:     global_buffer
      - .offset:         56
        .size:           4
        .value_kind:     by_value
      - .offset:         60
        .size:           4
        .value_kind:     by_value
      - .offset:         64
        .size:           4
        .value_kind:     hidden_block_count_x
      - .offset:         68
        .size:           4
        .value_kind:     hidden_block_count_y
      - .offset:         72
        .size:           4
        .value_kind:     hidden_block_count_z
      - .offset:         76
        .size:           2
        .value_kind:     hidden_group_size_x
      - .offset:         78
        .size:           2
        .value_kind:     hidden_group_size_y
      - .offset:         80
        .size:           2
        .value_kind:     hidden_group_size_z
      - .offset:         82
        .size:           2
        .value_kind:     hidden_remainder_x
      - .offset:         84
        .size:           2
        .value_kind:     hidden_remainder_y
      - .offset:         86
        .size:           2
        .value_kind:     hidden_remainder_z
      - .offset:         104
        .size:           8
        .value_kind:     hidden_global_offset_x
      - .offset:         112
        .size:           8
        .value_kind:     hidden_global_offset_y
      - .offset:         120
        .size:           8
        .value_kind:     hidden_global_offset_z
      - .offset:         128
        .size:           2
        .value_kind:     hidden_grid_dims
      - .offset:         144
        .size:           8
        .value_kind:     hidden_hostcall_buffer
    .group_segment_fixed_size: 0
    .kernarg_segment_align: 8
    .kernarg_segment_size: 320
    .language:       OpenCL C
    .language_version:
      - 2
      - 0
    .max_flat_workgroup_size: 1024
    .name:           _Z17wvSplitKQ_hf_sml_I6__halfN3c1015Float8_e4m3fnuzELi64ELi4ELi16ELi16ELi1ELi3EEviiiPKT0_S5_PT_PKfS9_ii
    .private_segment_fixed_size: 64
    .sgpr_count:     36
    .sgpr_spill_count: 0
    .symbol:         _Z17wvSplitKQ_hf_sml_I6__halfN3c1015Float8_e4m3fnuzELi64ELi4ELi16ELi16ELi1ELi3EEviiiPKT0_S5_PT_PKfS9_ii.kd
    .uniform_work_group_size: 1
    .uses_dynamic_stack: false
    .vgpr_count:     51
    .vgpr_spill_count: 0
    .wavefront_size: 32
  - .args:
      - .offset:         0
        .size:           4
        .value_kind:     by_value
      - .offset:         4
        .size:           4
        .value_kind:     by_value
      - .offset:         8
        .size:           4
        .value_kind:     by_value
      - .address_space:  global
        .offset:         16
        .size:           8
        .value_kind:     global_buffer
      - .actual_access:  read_only
        .address_space:  global
        .offset:         24
        .size:           8
        .value_kind:     global_buffer
      - .address_space:  global
        .offset:         32
        .size:           8
        .value_kind:     global_buffer
      - .actual_access:  read_only
        .address_space:  global
        .offset:         40
        .size:           8
        .value_kind:     global_buffer
      - .actual_access:  read_only
        .address_space:  global
        .offset:         48
        .size:           8
        .value_kind:     global_buffer
      - .offset:         56
        .size:           4
        .value_kind:     by_value
      - .offset:         60
        .size:           4
        .value_kind:     by_value
      - .offset:         64
        .size:           4
        .value_kind:     hidden_block_count_x
      - .offset:         68
        .size:           4
        .value_kind:     hidden_block_count_y
      - .offset:         72
        .size:           4
        .value_kind:     hidden_block_count_z
      - .offset:         76
        .size:           2
        .value_kind:     hidden_group_size_x
      - .offset:         78
        .size:           2
        .value_kind:     hidden_group_size_y
      - .offset:         80
        .size:           2
        .value_kind:     hidden_group_size_z
      - .offset:         82
        .size:           2
        .value_kind:     hidden_remainder_x
      - .offset:         84
        .size:           2
        .value_kind:     hidden_remainder_y
      - .offset:         86
        .size:           2
        .value_kind:     hidden_remainder_z
      - .offset:         104
        .size:           8
        .value_kind:     hidden_global_offset_x
      - .offset:         112
        .size:           8
        .value_kind:     hidden_global_offset_y
      - .offset:         120
        .size:           8
        .value_kind:     hidden_global_offset_z
      - .offset:         128
        .size:           2
        .value_kind:     hidden_grid_dims
      - .offset:         144
        .size:           8
        .value_kind:     hidden_hostcall_buffer
    .group_segment_fixed_size: 0
    .kernarg_segment_align: 8
    .kernarg_segment_size: 320
    .language:       OpenCL C
    .language_version:
      - 2
      - 0
    .max_flat_workgroup_size: 1024
    .name:           _Z13wvSplitKQ_hf_I6__halfN3c1015Float8_e4m3fnuzELi64ELi7ELi16ELi16ELi1ELi3EEviiiPKT0_S5_PT_PKfS9_ii
    .private_segment_fixed_size: 64
    .sgpr_count:     36
    .sgpr_spill_count: 0
    .symbol:         _Z13wvSplitKQ_hf_I6__halfN3c1015Float8_e4m3fnuzELi64ELi7ELi16ELi16ELi1ELi3EEviiiPKT0_S5_PT_PKfS9_ii.kd
    .uniform_work_group_size: 1
    .uses_dynamic_stack: false
    .vgpr_count:     51
    .vgpr_spill_count: 0
    .wavefront_size: 32
  - .args:
      - .offset:         0
        .size:           4
        .value_kind:     by_value
      - .offset:         4
        .size:           4
        .value_kind:     by_value
      - .offset:         8
        .size:           4
        .value_kind:     by_value
      - .address_space:  global
        .offset:         16
        .size:           8
        .value_kind:     global_buffer
      - .actual_access:  read_only
        .address_space:  global
        .offset:         24
        .size:           8
        .value_kind:     global_buffer
      - .address_space:  global
        .offset:         32
        .size:           8
        .value_kind:     global_buffer
      - .actual_access:  read_only
        .address_space:  global
        .offset:         40
        .size:           8
        .value_kind:     global_buffer
      - .actual_access:  read_only
        .address_space:  global
        .offset:         48
        .size:           8
        .value_kind:     global_buffer
      - .offset:         56
        .size:           4
        .value_kind:     by_value
      - .offset:         60
        .size:           4
        .value_kind:     by_value
      - .offset:         64
        .size:           4
        .value_kind:     hidden_block_count_x
      - .offset:         68
        .size:           4
        .value_kind:     hidden_block_count_y
      - .offset:         72
        .size:           4
        .value_kind:     hidden_block_count_z
      - .offset:         76
        .size:           2
        .value_kind:     hidden_group_size_x
      - .offset:         78
        .size:           2
        .value_kind:     hidden_group_size_y
      - .offset:         80
        .size:           2
        .value_kind:     hidden_group_size_z
      - .offset:         82
        .size:           2
        .value_kind:     hidden_remainder_x
      - .offset:         84
        .size:           2
        .value_kind:     hidden_remainder_y
      - .offset:         86
        .size:           2
        .value_kind:     hidden_remainder_z
      - .offset:         104
        .size:           8
        .value_kind:     hidden_global_offset_x
      - .offset:         112
        .size:           8
        .value_kind:     hidden_global_offset_y
      - .offset:         120
        .size:           8
        .value_kind:     hidden_global_offset_z
      - .offset:         128
        .size:           2
        .value_kind:     hidden_grid_dims
      - .offset:         144
        .size:           8
        .value_kind:     hidden_hostcall_buffer
    .group_segment_fixed_size: 0
    .kernarg_segment_align: 8
    .kernarg_segment_size: 320
    .language:       OpenCL C
    .language_version:
      - 2
      - 0
    .max_flat_workgroup_size: 1024
    .name:           _Z17wvSplitKQ_hf_sml_I6__halfN3c1015Float8_e4m3fnuzELi64ELi4ELi16ELi16ELi1ELi4EEviiiPKT0_S5_PT_PKfS9_ii
    .private_segment_fixed_size: 64
    .sgpr_count:     36
    .sgpr_spill_count: 0
    .symbol:         _Z17wvSplitKQ_hf_sml_I6__halfN3c1015Float8_e4m3fnuzELi64ELi4ELi16ELi16ELi1ELi4EEviiiPKT0_S5_PT_PKfS9_ii.kd
    .uniform_work_group_size: 1
    .uses_dynamic_stack: false
    .vgpr_count:     51
    .vgpr_spill_count: 0
    .wavefront_size: 32
  - .args:
      - .offset:         0
        .size:           4
        .value_kind:     by_value
      - .offset:         4
        .size:           4
        .value_kind:     by_value
      - .offset:         8
        .size:           4
        .value_kind:     by_value
      - .address_space:  global
        .offset:         16
        .size:           8
        .value_kind:     global_buffer
      - .actual_access:  read_only
        .address_space:  global
        .offset:         24
        .size:           8
        .value_kind:     global_buffer
      - .address_space:  global
        .offset:         32
        .size:           8
        .value_kind:     global_buffer
      - .actual_access:  read_only
        .address_space:  global
        .offset:         40
        .size:           8
        .value_kind:     global_buffer
      - .actual_access:  read_only
        .address_space:  global
        .offset:         48
        .size:           8
        .value_kind:     global_buffer
      - .offset:         56
        .size:           4
        .value_kind:     by_value
      - .offset:         60
        .size:           4
        .value_kind:     by_value
      - .offset:         64
        .size:           4
        .value_kind:     hidden_block_count_x
      - .offset:         68
        .size:           4
        .value_kind:     hidden_block_count_y
      - .offset:         72
        .size:           4
        .value_kind:     hidden_block_count_z
      - .offset:         76
        .size:           2
        .value_kind:     hidden_group_size_x
      - .offset:         78
        .size:           2
        .value_kind:     hidden_group_size_y
      - .offset:         80
        .size:           2
        .value_kind:     hidden_group_size_z
      - .offset:         82
        .size:           2
        .value_kind:     hidden_remainder_x
      - .offset:         84
        .size:           2
        .value_kind:     hidden_remainder_y
      - .offset:         86
        .size:           2
        .value_kind:     hidden_remainder_z
      - .offset:         104
        .size:           8
        .value_kind:     hidden_global_offset_x
      - .offset:         112
        .size:           8
        .value_kind:     hidden_global_offset_y
      - .offset:         120
        .size:           8
        .value_kind:     hidden_global_offset_z
      - .offset:         128
        .size:           2
        .value_kind:     hidden_grid_dims
      - .offset:         144
        .size:           8
        .value_kind:     hidden_hostcall_buffer
    .group_segment_fixed_size: 0
    .kernarg_segment_align: 8
    .kernarg_segment_size: 320
    .language:       OpenCL C
    .language_version:
      - 2
      - 0
    .max_flat_workgroup_size: 1024
    .name:           _Z13wvSplitKQ_hf_I6__halfN3c1015Float8_e4m3fnuzELi64ELi7ELi16ELi16ELi1ELi4EEviiiPKT0_S5_PT_PKfS9_ii
    .private_segment_fixed_size: 64
    .sgpr_count:     36
    .sgpr_spill_count: 0
    .symbol:         _Z13wvSplitKQ_hf_I6__halfN3c1015Float8_e4m3fnuzELi64ELi7ELi16ELi16ELi1ELi4EEviiiPKT0_S5_PT_PKfS9_ii.kd
    .uniform_work_group_size: 1
    .uses_dynamic_stack: false
    .vgpr_count:     51
    .vgpr_spill_count: 0
    .wavefront_size: 32
  - .args:
      - .offset:         0
        .size:           4
        .value_kind:     by_value
      - .offset:         4
        .size:           4
        .value_kind:     by_value
      - .offset:         8
        .size:           4
        .value_kind:     by_value
      - .address_space:  global
        .offset:         16
        .size:           8
        .value_kind:     global_buffer
      - .actual_access:  read_only
        .address_space:  global
        .offset:         24
        .size:           8
        .value_kind:     global_buffer
      - .address_space:  global
        .offset:         32
        .size:           8
        .value_kind:     global_buffer
      - .actual_access:  read_only
        .address_space:  global
        .offset:         40
        .size:           8
        .value_kind:     global_buffer
      - .actual_access:  read_only
        .address_space:  global
        .offset:         48
        .size:           8
        .value_kind:     global_buffer
      - .offset:         56
        .size:           4
        .value_kind:     by_value
      - .offset:         60
        .size:           4
        .value_kind:     by_value
      - .offset:         64
        .size:           4
        .value_kind:     hidden_block_count_x
      - .offset:         68
        .size:           4
        .value_kind:     hidden_block_count_y
      - .offset:         72
        .size:           4
        .value_kind:     hidden_block_count_z
      - .offset:         76
        .size:           2
        .value_kind:     hidden_group_size_x
      - .offset:         78
        .size:           2
        .value_kind:     hidden_group_size_y
      - .offset:         80
        .size:           2
        .value_kind:     hidden_group_size_z
      - .offset:         82
        .size:           2
        .value_kind:     hidden_remainder_x
      - .offset:         84
        .size:           2
        .value_kind:     hidden_remainder_y
      - .offset:         86
        .size:           2
        .value_kind:     hidden_remainder_z
      - .offset:         104
        .size:           8
        .value_kind:     hidden_global_offset_x
      - .offset:         112
        .size:           8
        .value_kind:     hidden_global_offset_y
      - .offset:         120
        .size:           8
        .value_kind:     hidden_global_offset_z
      - .offset:         128
        .size:           2
        .value_kind:     hidden_grid_dims
      - .offset:         144
        .size:           8
        .value_kind:     hidden_hostcall_buffer
    .group_segment_fixed_size: 0
    .kernarg_segment_align: 8
    .kernarg_segment_size: 320
    .language:       OpenCL C
    .language_version:
      - 2
      - 0
    .max_flat_workgroup_size: 1024
    .name:           _Z17wvSplitKQ_hf_sml_I14__hip_bfloat16N3c1013Float8_e4m3fnELi64ELi2ELi16ELi16ELi2ELi1EEviiiPKT0_S5_PT_PKfS9_ii
    .private_segment_fixed_size: 64
    .sgpr_count:     36
    .sgpr_spill_count: 0
    .symbol:         _Z17wvSplitKQ_hf_sml_I14__hip_bfloat16N3c1013Float8_e4m3fnELi64ELi2ELi16ELi16ELi2ELi1EEviiiPKT0_S5_PT_PKfS9_ii.kd
    .uniform_work_group_size: 1
    .uses_dynamic_stack: false
    .vgpr_count:     51
    .vgpr_spill_count: 0
    .wavefront_size: 32
  - .args:
      - .offset:         0
        .size:           4
        .value_kind:     by_value
      - .offset:         4
        .size:           4
        .value_kind:     by_value
      - .offset:         8
        .size:           4
        .value_kind:     by_value
      - .address_space:  global
        .offset:         16
        .size:           8
        .value_kind:     global_buffer
      - .actual_access:  read_only
        .address_space:  global
        .offset:         24
        .size:           8
        .value_kind:     global_buffer
      - .address_space:  global
        .offset:         32
        .size:           8
        .value_kind:     global_buffer
      - .actual_access:  read_only
        .address_space:  global
        .offset:         40
        .size:           8
        .value_kind:     global_buffer
      - .actual_access:  read_only
        .address_space:  global
        .offset:         48
        .size:           8
        .value_kind:     global_buffer
      - .offset:         56
        .size:           4
        .value_kind:     by_value
      - .offset:         60
        .size:           4
        .value_kind:     by_value
      - .offset:         64
        .size:           4
        .value_kind:     hidden_block_count_x
      - .offset:         68
        .size:           4
        .value_kind:     hidden_block_count_y
      - .offset:         72
        .size:           4
        .value_kind:     hidden_block_count_z
      - .offset:         76
        .size:           2
        .value_kind:     hidden_group_size_x
      - .offset:         78
        .size:           2
        .value_kind:     hidden_group_size_y
      - .offset:         80
        .size:           2
        .value_kind:     hidden_group_size_z
      - .offset:         82
        .size:           2
        .value_kind:     hidden_remainder_x
      - .offset:         84
        .size:           2
        .value_kind:     hidden_remainder_y
      - .offset:         86
        .size:           2
        .value_kind:     hidden_remainder_z
      - .offset:         104
        .size:           8
        .value_kind:     hidden_global_offset_x
      - .offset:         112
        .size:           8
        .value_kind:     hidden_global_offset_y
      - .offset:         120
        .size:           8
        .value_kind:     hidden_global_offset_z
      - .offset:         128
        .size:           2
        .value_kind:     hidden_grid_dims
      - .offset:         144
        .size:           8
        .value_kind:     hidden_hostcall_buffer
    .group_segment_fixed_size: 0
    .kernarg_segment_align: 8
    .kernarg_segment_size: 320
    .language:       OpenCL C
    .language_version:
      - 2
      - 0
    .max_flat_workgroup_size: 1024
    .name:           _Z13wvSplitKQ_hf_I14__hip_bfloat16N3c1013Float8_e4m3fnELi64ELi2ELi16ELi16ELi2ELi1EEviiiPKT0_S5_PT_PKfS9_ii
    .private_segment_fixed_size: 64
    .sgpr_count:     36
    .sgpr_spill_count: 0
    .symbol:         _Z13wvSplitKQ_hf_I14__hip_bfloat16N3c1013Float8_e4m3fnELi64ELi2ELi16ELi16ELi2ELi1EEviiiPKT0_S5_PT_PKfS9_ii.kd
    .uniform_work_group_size: 1
    .uses_dynamic_stack: false
    .vgpr_count:     51
    .vgpr_spill_count: 0
    .wavefront_size: 32
  - .args:
      - .offset:         0
        .size:           4
        .value_kind:     by_value
      - .offset:         4
        .size:           4
        .value_kind:     by_value
      - .offset:         8
        .size:           4
        .value_kind:     by_value
      - .address_space:  global
        .offset:         16
        .size:           8
        .value_kind:     global_buffer
      - .actual_access:  read_only
        .address_space:  global
        .offset:         24
        .size:           8
        .value_kind:     global_buffer
      - .address_space:  global
        .offset:         32
        .size:           8
        .value_kind:     global_buffer
      - .actual_access:  read_only
        .address_space:  global
        .offset:         40
        .size:           8
        .value_kind:     global_buffer
      - .actual_access:  read_only
        .address_space:  global
        .offset:         48
        .size:           8
        .value_kind:     global_buffer
      - .offset:         56
        .size:           4
        .value_kind:     by_value
      - .offset:         60
        .size:           4
        .value_kind:     by_value
      - .offset:         64
        .size:           4
        .value_kind:     hidden_block_count_x
      - .offset:         68
        .size:           4
        .value_kind:     hidden_block_count_y
      - .offset:         72
        .size:           4
        .value_kind:     hidden_block_count_z
      - .offset:         76
        .size:           2
        .value_kind:     hidden_group_size_x
      - .offset:         78
        .size:           2
        .value_kind:     hidden_group_size_y
      - .offset:         80
        .size:           2
        .value_kind:     hidden_group_size_z
      - .offset:         82
        .size:           2
        .value_kind:     hidden_remainder_x
      - .offset:         84
        .size:           2
        .value_kind:     hidden_remainder_y
      - .offset:         86
        .size:           2
        .value_kind:     hidden_remainder_z
      - .offset:         104
        .size:           8
        .value_kind:     hidden_global_offset_x
      - .offset:         112
        .size:           8
        .value_kind:     hidden_global_offset_y
      - .offset:         120
        .size:           8
        .value_kind:     hidden_global_offset_z
      - .offset:         128
        .size:           2
        .value_kind:     hidden_grid_dims
      - .offset:         144
        .size:           8
        .value_kind:     hidden_hostcall_buffer
    .group_segment_fixed_size: 0
    .kernarg_segment_align: 8
    .kernarg_segment_size: 320
    .language:       OpenCL C
    .language_version:
      - 2
      - 0
    .max_flat_workgroup_size: 1024
    .name:           _Z17wvSplitKQ_hf_sml_I14__hip_bfloat16N3c1013Float8_e4m3fnELi64ELi2ELi16ELi16ELi2ELi2EEviiiPKT0_S5_PT_PKfS9_ii
    .private_segment_fixed_size: 64
    .sgpr_count:     36
    .sgpr_spill_count: 0
    .symbol:         _Z17wvSplitKQ_hf_sml_I14__hip_bfloat16N3c1013Float8_e4m3fnELi64ELi2ELi16ELi16ELi2ELi2EEviiiPKT0_S5_PT_PKfS9_ii.kd
    .uniform_work_group_size: 1
    .uses_dynamic_stack: false
    .vgpr_count:     51
    .vgpr_spill_count: 0
    .wavefront_size: 32
  - .args:
      - .offset:         0
        .size:           4
        .value_kind:     by_value
      - .offset:         4
        .size:           4
        .value_kind:     by_value
      - .offset:         8
        .size:           4
        .value_kind:     by_value
      - .address_space:  global
        .offset:         16
        .size:           8
        .value_kind:     global_buffer
      - .actual_access:  read_only
        .address_space:  global
        .offset:         24
        .size:           8
        .value_kind:     global_buffer
      - .address_space:  global
        .offset:         32
        .size:           8
        .value_kind:     global_buffer
      - .actual_access:  read_only
        .address_space:  global
        .offset:         40
        .size:           8
        .value_kind:     global_buffer
      - .actual_access:  read_only
        .address_space:  global
        .offset:         48
        .size:           8
        .value_kind:     global_buffer
      - .offset:         56
        .size:           4
        .value_kind:     by_value
      - .offset:         60
        .size:           4
        .value_kind:     by_value
      - .offset:         64
        .size:           4
        .value_kind:     hidden_block_count_x
      - .offset:         68
        .size:           4
        .value_kind:     hidden_block_count_y
      - .offset:         72
        .size:           4
        .value_kind:     hidden_block_count_z
      - .offset:         76
        .size:           2
        .value_kind:     hidden_group_size_x
      - .offset:         78
        .size:           2
        .value_kind:     hidden_group_size_y
      - .offset:         80
        .size:           2
        .value_kind:     hidden_group_size_z
      - .offset:         82
        .size:           2
        .value_kind:     hidden_remainder_x
      - .offset:         84
        .size:           2
        .value_kind:     hidden_remainder_y
      - .offset:         86
        .size:           2
        .value_kind:     hidden_remainder_z
      - .offset:         104
        .size:           8
        .value_kind:     hidden_global_offset_x
      - .offset:         112
        .size:           8
        .value_kind:     hidden_global_offset_y
      - .offset:         120
        .size:           8
        .value_kind:     hidden_global_offset_z
      - .offset:         128
        .size:           2
        .value_kind:     hidden_grid_dims
      - .offset:         144
        .size:           8
        .value_kind:     hidden_hostcall_buffer
    .group_segment_fixed_size: 0
    .kernarg_segment_align: 8
    .kernarg_segment_size: 320
    .language:       OpenCL C
    .language_version:
      - 2
      - 0
    .max_flat_workgroup_size: 1024
    .name:           _Z13wvSplitKQ_hf_I14__hip_bfloat16N3c1013Float8_e4m3fnELi64ELi2ELi16ELi16ELi2ELi2EEviiiPKT0_S5_PT_PKfS9_ii
    .private_segment_fixed_size: 64
    .sgpr_count:     36
    .sgpr_spill_count: 0
    .symbol:         _Z13wvSplitKQ_hf_I14__hip_bfloat16N3c1013Float8_e4m3fnELi64ELi2ELi16ELi16ELi2ELi2EEviiiPKT0_S5_PT_PKfS9_ii.kd
    .uniform_work_group_size: 1
    .uses_dynamic_stack: false
    .vgpr_count:     51
    .vgpr_spill_count: 0
    .wavefront_size: 32
  - .args:
      - .offset:         0
        .size:           4
        .value_kind:     by_value
      - .offset:         4
        .size:           4
        .value_kind:     by_value
      - .offset:         8
        .size:           4
        .value_kind:     by_value
      - .address_space:  global
        .offset:         16
        .size:           8
        .value_kind:     global_buffer
      - .actual_access:  read_only
        .address_space:  global
        .offset:         24
        .size:           8
        .value_kind:     global_buffer
      - .address_space:  global
        .offset:         32
        .size:           8
        .value_kind:     global_buffer
      - .actual_access:  read_only
        .address_space:  global
        .offset:         40
        .size:           8
        .value_kind:     global_buffer
      - .actual_access:  read_only
        .address_space:  global
        .offset:         48
        .size:           8
        .value_kind:     global_buffer
      - .offset:         56
        .size:           4
        .value_kind:     by_value
      - .offset:         60
        .size:           4
        .value_kind:     by_value
      - .offset:         64
        .size:           4
        .value_kind:     hidden_block_count_x
      - .offset:         68
        .size:           4
        .value_kind:     hidden_block_count_y
      - .offset:         72
        .size:           4
        .value_kind:     hidden_block_count_z
      - .offset:         76
        .size:           2
        .value_kind:     hidden_group_size_x
      - .offset:         78
        .size:           2
        .value_kind:     hidden_group_size_y
      - .offset:         80
        .size:           2
        .value_kind:     hidden_group_size_z
      - .offset:         82
        .size:           2
        .value_kind:     hidden_remainder_x
      - .offset:         84
        .size:           2
        .value_kind:     hidden_remainder_y
      - .offset:         86
        .size:           2
        .value_kind:     hidden_remainder_z
      - .offset:         104
        .size:           8
        .value_kind:     hidden_global_offset_x
      - .offset:         112
        .size:           8
        .value_kind:     hidden_global_offset_y
      - .offset:         120
        .size:           8
        .value_kind:     hidden_global_offset_z
      - .offset:         128
        .size:           2
        .value_kind:     hidden_grid_dims
      - .offset:         144
        .size:           8
        .value_kind:     hidden_hostcall_buffer
    .group_segment_fixed_size: 0
    .kernarg_segment_align: 8
    .kernarg_segment_size: 320
    .language:       OpenCL C
    .language_version:
      - 2
      - 0
    .max_flat_workgroup_size: 1024
    .name:           _Z17wvSplitKQ_hf_sml_I14__hip_bfloat16N3c1013Float8_e4m3fnELi64ELi4ELi16ELi16ELi1ELi3EEviiiPKT0_S5_PT_PKfS9_ii
    .private_segment_fixed_size: 64
    .sgpr_count:     36
    .sgpr_spill_count: 0
    .symbol:         _Z17wvSplitKQ_hf_sml_I14__hip_bfloat16N3c1013Float8_e4m3fnELi64ELi4ELi16ELi16ELi1ELi3EEviiiPKT0_S5_PT_PKfS9_ii.kd
    .uniform_work_group_size: 1
    .uses_dynamic_stack: false
    .vgpr_count:     51
    .vgpr_spill_count: 0
    .wavefront_size: 32
  - .args:
      - .offset:         0
        .size:           4
        .value_kind:     by_value
      - .offset:         4
        .size:           4
        .value_kind:     by_value
      - .offset:         8
        .size:           4
        .value_kind:     by_value
      - .address_space:  global
        .offset:         16
        .size:           8
        .value_kind:     global_buffer
      - .actual_access:  read_only
        .address_space:  global
        .offset:         24
        .size:           8
        .value_kind:     global_buffer
      - .address_space:  global
        .offset:         32
        .size:           8
        .value_kind:     global_buffer
      - .actual_access:  read_only
        .address_space:  global
        .offset:         40
        .size:           8
        .value_kind:     global_buffer
      - .actual_access:  read_only
        .address_space:  global
        .offset:         48
        .size:           8
        .value_kind:     global_buffer
      - .offset:         56
        .size:           4
        .value_kind:     by_value
      - .offset:         60
        .size:           4
        .value_kind:     by_value
      - .offset:         64
        .size:           4
        .value_kind:     hidden_block_count_x
      - .offset:         68
        .size:           4
        .value_kind:     hidden_block_count_y
      - .offset:         72
        .size:           4
        .value_kind:     hidden_block_count_z
      - .offset:         76
        .size:           2
        .value_kind:     hidden_group_size_x
      - .offset:         78
        .size:           2
        .value_kind:     hidden_group_size_y
      - .offset:         80
        .size:           2
        .value_kind:     hidden_group_size_z
      - .offset:         82
        .size:           2
        .value_kind:     hidden_remainder_x
      - .offset:         84
        .size:           2
        .value_kind:     hidden_remainder_y
      - .offset:         86
        .size:           2
        .value_kind:     hidden_remainder_z
      - .offset:         104
        .size:           8
        .value_kind:     hidden_global_offset_x
      - .offset:         112
        .size:           8
        .value_kind:     hidden_global_offset_y
      - .offset:         120
        .size:           8
        .value_kind:     hidden_global_offset_z
      - .offset:         128
        .size:           2
        .value_kind:     hidden_grid_dims
      - .offset:         144
        .size:           8
        .value_kind:     hidden_hostcall_buffer
    .group_segment_fixed_size: 0
    .kernarg_segment_align: 8
    .kernarg_segment_size: 320
    .language:       OpenCL C
    .language_version:
      - 2
      - 0
    .max_flat_workgroup_size: 1024
    .name:           _Z13wvSplitKQ_hf_I14__hip_bfloat16N3c1013Float8_e4m3fnELi64ELi7ELi16ELi16ELi1ELi3EEviiiPKT0_S5_PT_PKfS9_ii
    .private_segment_fixed_size: 64
    .sgpr_count:     36
    .sgpr_spill_count: 0
    .symbol:         _Z13wvSplitKQ_hf_I14__hip_bfloat16N3c1013Float8_e4m3fnELi64ELi7ELi16ELi16ELi1ELi3EEviiiPKT0_S5_PT_PKfS9_ii.kd
    .uniform_work_group_size: 1
    .uses_dynamic_stack: false
    .vgpr_count:     51
    .vgpr_spill_count: 0
    .wavefront_size: 32
  - .args:
      - .offset:         0
        .size:           4
        .value_kind:     by_value
      - .offset:         4
        .size:           4
        .value_kind:     by_value
      - .offset:         8
        .size:           4
        .value_kind:     by_value
      - .address_space:  global
        .offset:         16
        .size:           8
        .value_kind:     global_buffer
      - .actual_access:  read_only
        .address_space:  global
        .offset:         24
        .size:           8
        .value_kind:     global_buffer
      - .address_space:  global
        .offset:         32
        .size:           8
        .value_kind:     global_buffer
      - .actual_access:  read_only
        .address_space:  global
        .offset:         40
        .size:           8
        .value_kind:     global_buffer
      - .actual_access:  read_only
        .address_space:  global
        .offset:         48
        .size:           8
        .value_kind:     global_buffer
      - .offset:         56
        .size:           4
        .value_kind:     by_value
      - .offset:         60
        .size:           4
        .value_kind:     by_value
      - .offset:         64
        .size:           4
        .value_kind:     hidden_block_count_x
      - .offset:         68
        .size:           4
        .value_kind:     hidden_block_count_y
      - .offset:         72
        .size:           4
        .value_kind:     hidden_block_count_z
      - .offset:         76
        .size:           2
        .value_kind:     hidden_group_size_x
      - .offset:         78
        .size:           2
        .value_kind:     hidden_group_size_y
      - .offset:         80
        .size:           2
        .value_kind:     hidden_group_size_z
      - .offset:         82
        .size:           2
        .value_kind:     hidden_remainder_x
      - .offset:         84
        .size:           2
        .value_kind:     hidden_remainder_y
      - .offset:         86
        .size:           2
        .value_kind:     hidden_remainder_z
      - .offset:         104
        .size:           8
        .value_kind:     hidden_global_offset_x
      - .offset:         112
        .size:           8
        .value_kind:     hidden_global_offset_y
      - .offset:         120
        .size:           8
        .value_kind:     hidden_global_offset_z
      - .offset:         128
        .size:           2
        .value_kind:     hidden_grid_dims
      - .offset:         144
        .size:           8
        .value_kind:     hidden_hostcall_buffer
    .group_segment_fixed_size: 0
    .kernarg_segment_align: 8
    .kernarg_segment_size: 320
    .language:       OpenCL C
    .language_version:
      - 2
      - 0
    .max_flat_workgroup_size: 1024
    .name:           _Z17wvSplitKQ_hf_sml_I14__hip_bfloat16N3c1013Float8_e4m3fnELi64ELi4ELi16ELi16ELi1ELi4EEviiiPKT0_S5_PT_PKfS9_ii
    .private_segment_fixed_size: 64
    .sgpr_count:     36
    .sgpr_spill_count: 0
    .symbol:         _Z17wvSplitKQ_hf_sml_I14__hip_bfloat16N3c1013Float8_e4m3fnELi64ELi4ELi16ELi16ELi1ELi4EEviiiPKT0_S5_PT_PKfS9_ii.kd
    .uniform_work_group_size: 1
    .uses_dynamic_stack: false
    .vgpr_count:     51
    .vgpr_spill_count: 0
    .wavefront_size: 32
  - .args:
      - .offset:         0
        .size:           4
        .value_kind:     by_value
      - .offset:         4
        .size:           4
        .value_kind:     by_value
      - .offset:         8
        .size:           4
        .value_kind:     by_value
      - .address_space:  global
        .offset:         16
        .size:           8
        .value_kind:     global_buffer
      - .actual_access:  read_only
        .address_space:  global
        .offset:         24
        .size:           8
        .value_kind:     global_buffer
      - .address_space:  global
        .offset:         32
        .size:           8
        .value_kind:     global_buffer
      - .actual_access:  read_only
        .address_space:  global
        .offset:         40
        .size:           8
        .value_kind:     global_buffer
      - .actual_access:  read_only
        .address_space:  global
        .offset:         48
        .size:           8
        .value_kind:     global_buffer
      - .offset:         56
        .size:           4
        .value_kind:     by_value
      - .offset:         60
        .size:           4
        .value_kind:     by_value
      - .offset:         64
        .size:           4
        .value_kind:     hidden_block_count_x
      - .offset:         68
        .size:           4
        .value_kind:     hidden_block_count_y
      - .offset:         72
        .size:           4
        .value_kind:     hidden_block_count_z
      - .offset:         76
        .size:           2
        .value_kind:     hidden_group_size_x
      - .offset:         78
        .size:           2
        .value_kind:     hidden_group_size_y
      - .offset:         80
        .size:           2
        .value_kind:     hidden_group_size_z
      - .offset:         82
        .size:           2
        .value_kind:     hidden_remainder_x
      - .offset:         84
        .size:           2
        .value_kind:     hidden_remainder_y
      - .offset:         86
        .size:           2
        .value_kind:     hidden_remainder_z
      - .offset:         104
        .size:           8
        .value_kind:     hidden_global_offset_x
      - .offset:         112
        .size:           8
        .value_kind:     hidden_global_offset_y
      - .offset:         120
        .size:           8
        .value_kind:     hidden_global_offset_z
      - .offset:         128
        .size:           2
        .value_kind:     hidden_grid_dims
      - .offset:         144
        .size:           8
        .value_kind:     hidden_hostcall_buffer
    .group_segment_fixed_size: 0
    .kernarg_segment_align: 8
    .kernarg_segment_size: 320
    .language:       OpenCL C
    .language_version:
      - 2
      - 0
    .max_flat_workgroup_size: 1024
    .name:           _Z13wvSplitKQ_hf_I14__hip_bfloat16N3c1013Float8_e4m3fnELi64ELi7ELi16ELi16ELi1ELi4EEviiiPKT0_S5_PT_PKfS9_ii
    .private_segment_fixed_size: 64
    .sgpr_count:     36
    .sgpr_spill_count: 0
    .symbol:         _Z13wvSplitKQ_hf_I14__hip_bfloat16N3c1013Float8_e4m3fnELi64ELi7ELi16ELi16ELi1ELi4EEviiiPKT0_S5_PT_PKfS9_ii.kd
    .uniform_work_group_size: 1
    .uses_dynamic_stack: false
    .vgpr_count:     51
    .vgpr_spill_count: 0
    .wavefront_size: 32
  - .args:
      - .offset:         0
        .size:           4
        .value_kind:     by_value
      - .offset:         4
        .size:           4
        .value_kind:     by_value
      - .offset:         8
        .size:           4
        .value_kind:     by_value
      - .address_space:  global
        .offset:         16
        .size:           8
        .value_kind:     global_buffer
      - .actual_access:  read_only
        .address_space:  global
        .offset:         24
        .size:           8
        .value_kind:     global_buffer
      - .address_space:  global
        .offset:         32
        .size:           8
        .value_kind:     global_buffer
      - .actual_access:  read_only
        .address_space:  global
        .offset:         40
        .size:           8
        .value_kind:     global_buffer
      - .actual_access:  read_only
        .address_space:  global
        .offset:         48
        .size:           8
        .value_kind:     global_buffer
      - .offset:         56
        .size:           4
        .value_kind:     by_value
      - .offset:         60
        .size:           4
        .value_kind:     by_value
      - .offset:         64
        .size:           4
        .value_kind:     hidden_block_count_x
      - .offset:         68
        .size:           4
        .value_kind:     hidden_block_count_y
      - .offset:         72
        .size:           4
        .value_kind:     hidden_block_count_z
      - .offset:         76
        .size:           2
        .value_kind:     hidden_group_size_x
      - .offset:         78
        .size:           2
        .value_kind:     hidden_group_size_y
      - .offset:         80
        .size:           2
        .value_kind:     hidden_group_size_z
      - .offset:         82
        .size:           2
        .value_kind:     hidden_remainder_x
      - .offset:         84
        .size:           2
        .value_kind:     hidden_remainder_y
      - .offset:         86
        .size:           2
        .value_kind:     hidden_remainder_z
      - .offset:         104
        .size:           8
        .value_kind:     hidden_global_offset_x
      - .offset:         112
        .size:           8
        .value_kind:     hidden_global_offset_y
      - .offset:         120
        .size:           8
        .value_kind:     hidden_global_offset_z
      - .offset:         128
        .size:           2
        .value_kind:     hidden_grid_dims
      - .offset:         144
        .size:           8
        .value_kind:     hidden_hostcall_buffer
    .group_segment_fixed_size: 0
    .kernarg_segment_align: 8
    .kernarg_segment_size: 320
    .language:       OpenCL C
    .language_version:
      - 2
      - 0
    .max_flat_workgroup_size: 1024
    .name:           _Z17wvSplitKQ_hf_sml_I14__hip_bfloat16N3c1015Float8_e4m3fnuzELi64ELi2ELi16ELi16ELi2ELi1EEviiiPKT0_S5_PT_PKfS9_ii
    .private_segment_fixed_size: 64
    .sgpr_count:     36
    .sgpr_spill_count: 0
    .symbol:         _Z17wvSplitKQ_hf_sml_I14__hip_bfloat16N3c1015Float8_e4m3fnuzELi64ELi2ELi16ELi16ELi2ELi1EEviiiPKT0_S5_PT_PKfS9_ii.kd
    .uniform_work_group_size: 1
    .uses_dynamic_stack: false
    .vgpr_count:     51
    .vgpr_spill_count: 0
    .wavefront_size: 32
  - .args:
      - .offset:         0
        .size:           4
        .value_kind:     by_value
      - .offset:         4
        .size:           4
        .value_kind:     by_value
      - .offset:         8
        .size:           4
        .value_kind:     by_value
      - .address_space:  global
        .offset:         16
        .size:           8
        .value_kind:     global_buffer
      - .actual_access:  read_only
        .address_space:  global
        .offset:         24
        .size:           8
        .value_kind:     global_buffer
      - .address_space:  global
        .offset:         32
        .size:           8
        .value_kind:     global_buffer
      - .actual_access:  read_only
        .address_space:  global
        .offset:         40
        .size:           8
        .value_kind:     global_buffer
      - .actual_access:  read_only
        .address_space:  global
        .offset:         48
        .size:           8
        .value_kind:     global_buffer
      - .offset:         56
        .size:           4
        .value_kind:     by_value
      - .offset:         60
        .size:           4
        .value_kind:     by_value
      - .offset:         64
        .size:           4
        .value_kind:     hidden_block_count_x
      - .offset:         68
        .size:           4
        .value_kind:     hidden_block_count_y
      - .offset:         72
        .size:           4
        .value_kind:     hidden_block_count_z
      - .offset:         76
        .size:           2
        .value_kind:     hidden_group_size_x
      - .offset:         78
        .size:           2
        .value_kind:     hidden_group_size_y
      - .offset:         80
        .size:           2
        .value_kind:     hidden_group_size_z
      - .offset:         82
        .size:           2
        .value_kind:     hidden_remainder_x
      - .offset:         84
        .size:           2
        .value_kind:     hidden_remainder_y
      - .offset:         86
        .size:           2
        .value_kind:     hidden_remainder_z
      - .offset:         104
        .size:           8
        .value_kind:     hidden_global_offset_x
      - .offset:         112
        .size:           8
        .value_kind:     hidden_global_offset_y
      - .offset:         120
        .size:           8
        .value_kind:     hidden_global_offset_z
      - .offset:         128
        .size:           2
        .value_kind:     hidden_grid_dims
      - .offset:         144
        .size:           8
        .value_kind:     hidden_hostcall_buffer
    .group_segment_fixed_size: 0
    .kernarg_segment_align: 8
    .kernarg_segment_size: 320
    .language:       OpenCL C
    .language_version:
      - 2
      - 0
    .max_flat_workgroup_size: 1024
    .name:           _Z13wvSplitKQ_hf_I14__hip_bfloat16N3c1015Float8_e4m3fnuzELi64ELi2ELi16ELi16ELi2ELi1EEviiiPKT0_S5_PT_PKfS9_ii
    .private_segment_fixed_size: 64
    .sgpr_count:     36
    .sgpr_spill_count: 0
    .symbol:         _Z13wvSplitKQ_hf_I14__hip_bfloat16N3c1015Float8_e4m3fnuzELi64ELi2ELi16ELi16ELi2ELi1EEviiiPKT0_S5_PT_PKfS9_ii.kd
    .uniform_work_group_size: 1
    .uses_dynamic_stack: false
    .vgpr_count:     51
    .vgpr_spill_count: 0
    .wavefront_size: 32
  - .args:
      - .offset:         0
        .size:           4
        .value_kind:     by_value
      - .offset:         4
        .size:           4
        .value_kind:     by_value
      - .offset:         8
        .size:           4
        .value_kind:     by_value
      - .address_space:  global
        .offset:         16
        .size:           8
        .value_kind:     global_buffer
      - .actual_access:  read_only
        .address_space:  global
        .offset:         24
        .size:           8
        .value_kind:     global_buffer
      - .address_space:  global
        .offset:         32
        .size:           8
        .value_kind:     global_buffer
      - .actual_access:  read_only
        .address_space:  global
        .offset:         40
        .size:           8
        .value_kind:     global_buffer
      - .actual_access:  read_only
        .address_space:  global
        .offset:         48
        .size:           8
        .value_kind:     global_buffer
      - .offset:         56
        .size:           4
        .value_kind:     by_value
      - .offset:         60
        .size:           4
        .value_kind:     by_value
      - .offset:         64
        .size:           4
        .value_kind:     hidden_block_count_x
      - .offset:         68
        .size:           4
        .value_kind:     hidden_block_count_y
      - .offset:         72
        .size:           4
        .value_kind:     hidden_block_count_z
      - .offset:         76
        .size:           2
        .value_kind:     hidden_group_size_x
      - .offset:         78
        .size:           2
        .value_kind:     hidden_group_size_y
      - .offset:         80
        .size:           2
        .value_kind:     hidden_group_size_z
      - .offset:         82
        .size:           2
        .value_kind:     hidden_remainder_x
      - .offset:         84
        .size:           2
        .value_kind:     hidden_remainder_y
      - .offset:         86
        .size:           2
        .value_kind:     hidden_remainder_z
      - .offset:         104
        .size:           8
        .value_kind:     hidden_global_offset_x
      - .offset:         112
        .size:           8
        .value_kind:     hidden_global_offset_y
      - .offset:         120
        .size:           8
        .value_kind:     hidden_global_offset_z
      - .offset:         128
        .size:           2
        .value_kind:     hidden_grid_dims
      - .offset:         144
        .size:           8
        .value_kind:     hidden_hostcall_buffer
    .group_segment_fixed_size: 0
    .kernarg_segment_align: 8
    .kernarg_segment_size: 320
    .language:       OpenCL C
    .language_version:
      - 2
      - 0
    .max_flat_workgroup_size: 1024
    .name:           _Z17wvSplitKQ_hf_sml_I14__hip_bfloat16N3c1015Float8_e4m3fnuzELi64ELi2ELi16ELi16ELi2ELi2EEviiiPKT0_S5_PT_PKfS9_ii
    .private_segment_fixed_size: 64
    .sgpr_count:     36
    .sgpr_spill_count: 0
    .symbol:         _Z17wvSplitKQ_hf_sml_I14__hip_bfloat16N3c1015Float8_e4m3fnuzELi64ELi2ELi16ELi16ELi2ELi2EEviiiPKT0_S5_PT_PKfS9_ii.kd
    .uniform_work_group_size: 1
    .uses_dynamic_stack: false
    .vgpr_count:     51
    .vgpr_spill_count: 0
    .wavefront_size: 32
  - .args:
      - .offset:         0
        .size:           4
        .value_kind:     by_value
      - .offset:         4
        .size:           4
        .value_kind:     by_value
      - .offset:         8
        .size:           4
        .value_kind:     by_value
      - .address_space:  global
        .offset:         16
        .size:           8
        .value_kind:     global_buffer
      - .actual_access:  read_only
        .address_space:  global
        .offset:         24
        .size:           8
        .value_kind:     global_buffer
      - .address_space:  global
        .offset:         32
        .size:           8
        .value_kind:     global_buffer
      - .actual_access:  read_only
        .address_space:  global
        .offset:         40
        .size:           8
        .value_kind:     global_buffer
      - .actual_access:  read_only
        .address_space:  global
        .offset:         48
        .size:           8
        .value_kind:     global_buffer
      - .offset:         56
        .size:           4
        .value_kind:     by_value
      - .offset:         60
        .size:           4
        .value_kind:     by_value
      - .offset:         64
        .size:           4
        .value_kind:     hidden_block_count_x
      - .offset:         68
        .size:           4
        .value_kind:     hidden_block_count_y
      - .offset:         72
        .size:           4
        .value_kind:     hidden_block_count_z
      - .offset:         76
        .size:           2
        .value_kind:     hidden_group_size_x
      - .offset:         78
        .size:           2
        .value_kind:     hidden_group_size_y
      - .offset:         80
        .size:           2
        .value_kind:     hidden_group_size_z
      - .offset:         82
        .size:           2
        .value_kind:     hidden_remainder_x
      - .offset:         84
        .size:           2
        .value_kind:     hidden_remainder_y
      - .offset:         86
        .size:           2
        .value_kind:     hidden_remainder_z
      - .offset:         104
        .size:           8
        .value_kind:     hidden_global_offset_x
      - .offset:         112
        .size:           8
        .value_kind:     hidden_global_offset_y
      - .offset:         120
        .size:           8
        .value_kind:     hidden_global_offset_z
      - .offset:         128
        .size:           2
        .value_kind:     hidden_grid_dims
      - .offset:         144
        .size:           8
        .value_kind:     hidden_hostcall_buffer
    .group_segment_fixed_size: 0
    .kernarg_segment_align: 8
    .kernarg_segment_size: 320
    .language:       OpenCL C
    .language_version:
      - 2
      - 0
    .max_flat_workgroup_size: 1024
    .name:           _Z13wvSplitKQ_hf_I14__hip_bfloat16N3c1015Float8_e4m3fnuzELi64ELi2ELi16ELi16ELi2ELi2EEviiiPKT0_S5_PT_PKfS9_ii
    .private_segment_fixed_size: 64
    .sgpr_count:     36
    .sgpr_spill_count: 0
    .symbol:         _Z13wvSplitKQ_hf_I14__hip_bfloat16N3c1015Float8_e4m3fnuzELi64ELi2ELi16ELi16ELi2ELi2EEviiiPKT0_S5_PT_PKfS9_ii.kd
    .uniform_work_group_size: 1
    .uses_dynamic_stack: false
    .vgpr_count:     51
    .vgpr_spill_count: 0
    .wavefront_size: 32
  - .args:
      - .offset:         0
        .size:           4
        .value_kind:     by_value
      - .offset:         4
        .size:           4
        .value_kind:     by_value
      - .offset:         8
        .size:           4
        .value_kind:     by_value
      - .address_space:  global
        .offset:         16
        .size:           8
        .value_kind:     global_buffer
      - .actual_access:  read_only
        .address_space:  global
        .offset:         24
        .size:           8
        .value_kind:     global_buffer
      - .address_space:  global
        .offset:         32
        .size:           8
        .value_kind:     global_buffer
      - .actual_access:  read_only
        .address_space:  global
        .offset:         40
        .size:           8
        .value_kind:     global_buffer
      - .actual_access:  read_only
        .address_space:  global
        .offset:         48
        .size:           8
        .value_kind:     global_buffer
      - .offset:         56
        .size:           4
        .value_kind:     by_value
      - .offset:         60
        .size:           4
        .value_kind:     by_value
      - .offset:         64
        .size:           4
        .value_kind:     hidden_block_count_x
      - .offset:         68
        .size:           4
        .value_kind:     hidden_block_count_y
      - .offset:         72
        .size:           4
        .value_kind:     hidden_block_count_z
      - .offset:         76
        .size:           2
        .value_kind:     hidden_group_size_x
      - .offset:         78
        .size:           2
        .value_kind:     hidden_group_size_y
      - .offset:         80
        .size:           2
        .value_kind:     hidden_group_size_z
      - .offset:         82
        .size:           2
        .value_kind:     hidden_remainder_x
      - .offset:         84
        .size:           2
        .value_kind:     hidden_remainder_y
      - .offset:         86
        .size:           2
        .value_kind:     hidden_remainder_z
      - .offset:         104
        .size:           8
        .value_kind:     hidden_global_offset_x
      - .offset:         112
        .size:           8
        .value_kind:     hidden_global_offset_y
      - .offset:         120
        .size:           8
        .value_kind:     hidden_global_offset_z
      - .offset:         128
        .size:           2
        .value_kind:     hidden_grid_dims
      - .offset:         144
        .size:           8
        .value_kind:     hidden_hostcall_buffer
    .group_segment_fixed_size: 0
    .kernarg_segment_align: 8
    .kernarg_segment_size: 320
    .language:       OpenCL C
    .language_version:
      - 2
      - 0
    .max_flat_workgroup_size: 1024
    .name:           _Z17wvSplitKQ_hf_sml_I14__hip_bfloat16N3c1015Float8_e4m3fnuzELi64ELi4ELi16ELi16ELi1ELi3EEviiiPKT0_S5_PT_PKfS9_ii
    .private_segment_fixed_size: 64
    .sgpr_count:     36
    .sgpr_spill_count: 0
    .symbol:         _Z17wvSplitKQ_hf_sml_I14__hip_bfloat16N3c1015Float8_e4m3fnuzELi64ELi4ELi16ELi16ELi1ELi3EEviiiPKT0_S5_PT_PKfS9_ii.kd
    .uniform_work_group_size: 1
    .uses_dynamic_stack: false
    .vgpr_count:     51
    .vgpr_spill_count: 0
    .wavefront_size: 32
  - .args:
      - .offset:         0
        .size:           4
        .value_kind:     by_value
      - .offset:         4
        .size:           4
        .value_kind:     by_value
      - .offset:         8
        .size:           4
        .value_kind:     by_value
      - .address_space:  global
        .offset:         16
        .size:           8
        .value_kind:     global_buffer
      - .actual_access:  read_only
        .address_space:  global
        .offset:         24
        .size:           8
        .value_kind:     global_buffer
      - .address_space:  global
        .offset:         32
        .size:           8
        .value_kind:     global_buffer
      - .actual_access:  read_only
        .address_space:  global
        .offset:         40
        .size:           8
        .value_kind:     global_buffer
      - .actual_access:  read_only
        .address_space:  global
        .offset:         48
        .size:           8
        .value_kind:     global_buffer
      - .offset:         56
        .size:           4
        .value_kind:     by_value
      - .offset:         60
        .size:           4
        .value_kind:     by_value
      - .offset:         64
        .size:           4
        .value_kind:     hidden_block_count_x
      - .offset:         68
        .size:           4
        .value_kind:     hidden_block_count_y
      - .offset:         72
        .size:           4
        .value_kind:     hidden_block_count_z
      - .offset:         76
        .size:           2
        .value_kind:     hidden_group_size_x
      - .offset:         78
        .size:           2
        .value_kind:     hidden_group_size_y
      - .offset:         80
        .size:           2
        .value_kind:     hidden_group_size_z
      - .offset:         82
        .size:           2
        .value_kind:     hidden_remainder_x
      - .offset:         84
        .size:           2
        .value_kind:     hidden_remainder_y
      - .offset:         86
        .size:           2
        .value_kind:     hidden_remainder_z
      - .offset:         104
        .size:           8
        .value_kind:     hidden_global_offset_x
      - .offset:         112
        .size:           8
        .value_kind:     hidden_global_offset_y
      - .offset:         120
        .size:           8
        .value_kind:     hidden_global_offset_z
      - .offset:         128
        .size:           2
        .value_kind:     hidden_grid_dims
      - .offset:         144
        .size:           8
        .value_kind:     hidden_hostcall_buffer
    .group_segment_fixed_size: 0
    .kernarg_segment_align: 8
    .kernarg_segment_size: 320
    .language:       OpenCL C
    .language_version:
      - 2
      - 0
    .max_flat_workgroup_size: 1024
    .name:           _Z13wvSplitKQ_hf_I14__hip_bfloat16N3c1015Float8_e4m3fnuzELi64ELi7ELi16ELi16ELi1ELi3EEviiiPKT0_S5_PT_PKfS9_ii
    .private_segment_fixed_size: 64
    .sgpr_count:     36
    .sgpr_spill_count: 0
    .symbol:         _Z13wvSplitKQ_hf_I14__hip_bfloat16N3c1015Float8_e4m3fnuzELi64ELi7ELi16ELi16ELi1ELi3EEviiiPKT0_S5_PT_PKfS9_ii.kd
    .uniform_work_group_size: 1
    .uses_dynamic_stack: false
    .vgpr_count:     51
    .vgpr_spill_count: 0
    .wavefront_size: 32
  - .args:
      - .offset:         0
        .size:           4
        .value_kind:     by_value
      - .offset:         4
        .size:           4
        .value_kind:     by_value
      - .offset:         8
        .size:           4
        .value_kind:     by_value
      - .address_space:  global
        .offset:         16
        .size:           8
        .value_kind:     global_buffer
      - .actual_access:  read_only
        .address_space:  global
        .offset:         24
        .size:           8
        .value_kind:     global_buffer
      - .address_space:  global
        .offset:         32
        .size:           8
        .value_kind:     global_buffer
      - .actual_access:  read_only
        .address_space:  global
        .offset:         40
        .size:           8
        .value_kind:     global_buffer
      - .actual_access:  read_only
        .address_space:  global
        .offset:         48
        .size:           8
        .value_kind:     global_buffer
      - .offset:         56
        .size:           4
        .value_kind:     by_value
      - .offset:         60
        .size:           4
        .value_kind:     by_value
      - .offset:         64
        .size:           4
        .value_kind:     hidden_block_count_x
      - .offset:         68
        .size:           4
        .value_kind:     hidden_block_count_y
      - .offset:         72
        .size:           4
        .value_kind:     hidden_block_count_z
      - .offset:         76
        .size:           2
        .value_kind:     hidden_group_size_x
      - .offset:         78
        .size:           2
        .value_kind:     hidden_group_size_y
      - .offset:         80
        .size:           2
        .value_kind:     hidden_group_size_z
      - .offset:         82
        .size:           2
        .value_kind:     hidden_remainder_x
      - .offset:         84
        .size:           2
        .value_kind:     hidden_remainder_y
      - .offset:         86
        .size:           2
        .value_kind:     hidden_remainder_z
      - .offset:         104
        .size:           8
        .value_kind:     hidden_global_offset_x
      - .offset:         112
        .size:           8
        .value_kind:     hidden_global_offset_y
      - .offset:         120
        .size:           8
        .value_kind:     hidden_global_offset_z
      - .offset:         128
        .size:           2
        .value_kind:     hidden_grid_dims
      - .offset:         144
        .size:           8
        .value_kind:     hidden_hostcall_buffer
    .group_segment_fixed_size: 0
    .kernarg_segment_align: 8
    .kernarg_segment_size: 320
    .language:       OpenCL C
    .language_version:
      - 2
      - 0
    .max_flat_workgroup_size: 1024
    .name:           _Z17wvSplitKQ_hf_sml_I14__hip_bfloat16N3c1015Float8_e4m3fnuzELi64ELi4ELi16ELi16ELi1ELi4EEviiiPKT0_S5_PT_PKfS9_ii
    .private_segment_fixed_size: 64
    .sgpr_count:     36
    .sgpr_spill_count: 0
    .symbol:         _Z17wvSplitKQ_hf_sml_I14__hip_bfloat16N3c1015Float8_e4m3fnuzELi64ELi4ELi16ELi16ELi1ELi4EEviiiPKT0_S5_PT_PKfS9_ii.kd
    .uniform_work_group_size: 1
    .uses_dynamic_stack: false
    .vgpr_count:     51
    .vgpr_spill_count: 0
    .wavefront_size: 32
  - .args:
      - .offset:         0
        .size:           4
        .value_kind:     by_value
      - .offset:         4
        .size:           4
        .value_kind:     by_value
      - .offset:         8
        .size:           4
        .value_kind:     by_value
      - .address_space:  global
        .offset:         16
        .size:           8
        .value_kind:     global_buffer
      - .actual_access:  read_only
        .address_space:  global
        .offset:         24
        .size:           8
        .value_kind:     global_buffer
      - .address_space:  global
        .offset:         32
        .size:           8
        .value_kind:     global_buffer
      - .actual_access:  read_only
        .address_space:  global
        .offset:         40
        .size:           8
        .value_kind:     global_buffer
      - .actual_access:  read_only
        .address_space:  global
        .offset:         48
        .size:           8
        .value_kind:     global_buffer
      - .offset:         56
        .size:           4
        .value_kind:     by_value
      - .offset:         60
        .size:           4
        .value_kind:     by_value
      - .offset:         64
        .size:           4
        .value_kind:     hidden_block_count_x
      - .offset:         68
        .size:           4
        .value_kind:     hidden_block_count_y
      - .offset:         72
        .size:           4
        .value_kind:     hidden_block_count_z
      - .offset:         76
        .size:           2
        .value_kind:     hidden_group_size_x
      - .offset:         78
        .size:           2
        .value_kind:     hidden_group_size_y
      - .offset:         80
        .size:           2
        .value_kind:     hidden_group_size_z
      - .offset:         82
        .size:           2
        .value_kind:     hidden_remainder_x
      - .offset:         84
        .size:           2
        .value_kind:     hidden_remainder_y
      - .offset:         86
        .size:           2
        .value_kind:     hidden_remainder_z
      - .offset:         104
        .size:           8
        .value_kind:     hidden_global_offset_x
      - .offset:         112
        .size:           8
        .value_kind:     hidden_global_offset_y
      - .offset:         120
        .size:           8
        .value_kind:     hidden_global_offset_z
      - .offset:         128
        .size:           2
        .value_kind:     hidden_grid_dims
      - .offset:         144
        .size:           8
        .value_kind:     hidden_hostcall_buffer
    .group_segment_fixed_size: 0
    .kernarg_segment_align: 8
    .kernarg_segment_size: 320
    .language:       OpenCL C
    .language_version:
      - 2
      - 0
    .max_flat_workgroup_size: 1024
    .name:           _Z13wvSplitKQ_hf_I14__hip_bfloat16N3c1015Float8_e4m3fnuzELi64ELi7ELi16ELi16ELi1ELi4EEviiiPKT0_S5_PT_PKfS9_ii
    .private_segment_fixed_size: 64
    .sgpr_count:     36
    .sgpr_spill_count: 0
    .symbol:         _Z13wvSplitKQ_hf_I14__hip_bfloat16N3c1015Float8_e4m3fnuzELi64ELi7ELi16ELi16ELi1ELi4EEviiiPKT0_S5_PT_PKfS9_ii.kd
    .uniform_work_group_size: 1
    .uses_dynamic_stack: false
    .vgpr_count:     51
    .vgpr_spill_count: 0
    .wavefront_size: 32
amdhsa.target:   amdgcn-amd-amdhsa--gfx1250
amdhsa.version:
  - 1
  - 2
...

	.end_amdgpu_metadata
